;; amdgpu-corpus repo=ROCm/aiter kind=compiled arch=gfx1100 opt=O3
	.text
	.amdgcn_target "amdgcn-amd-amdhsa--gfx1100"
	.amdhsa_code_object_version 6
	.section	.text._ZN7ck_tileL11flush_cacheEv,"axG",@progbits,_ZN7ck_tileL11flush_cacheEv,comdat
	.globl	_ZN7ck_tileL11flush_cacheEv     ; -- Begin function _ZN7ck_tileL11flush_cacheEv
	.p2align	8
	.type	_ZN7ck_tileL11flush_cacheEv,@function
_ZN7ck_tileL11flush_cacheEv:            ; @_ZN7ck_tileL11flush_cacheEv
; %bb.0:
	;;#ASMSTART
	s_icache_inv 
	s_nop 0 
	s_nop 0 
	;; [unrolled: 1-line block ×16, first 2 shown]
	
	;;#ASMEND
	s_endpgm
	.section	.rodata,"a",@progbits
	.p2align	6, 0x0
	.amdhsa_kernel _ZN7ck_tileL11flush_cacheEv
		.amdhsa_group_segment_fixed_size 0
		.amdhsa_private_segment_fixed_size 0
		.amdhsa_kernarg_size 0
		.amdhsa_user_sgpr_count 15
		.amdhsa_user_sgpr_dispatch_ptr 0
		.amdhsa_user_sgpr_queue_ptr 0
		.amdhsa_user_sgpr_kernarg_segment_ptr 0
		.amdhsa_user_sgpr_dispatch_id 0
		.amdhsa_user_sgpr_private_segment_size 0
		.amdhsa_wavefront_size32 1
		.amdhsa_uses_dynamic_stack 0
		.amdhsa_enable_private_segment 0
		.amdhsa_system_sgpr_workgroup_id_x 1
		.amdhsa_system_sgpr_workgroup_id_y 0
		.amdhsa_system_sgpr_workgroup_id_z 0
		.amdhsa_system_sgpr_workgroup_info 0
		.amdhsa_system_vgpr_workitem_id 0
		.amdhsa_next_free_vgpr 1
		.amdhsa_next_free_sgpr 1
		.amdhsa_reserve_vcc 0
		.amdhsa_float_round_mode_32 0
		.amdhsa_float_round_mode_16_64 0
		.amdhsa_float_denorm_mode_32 3
		.amdhsa_float_denorm_mode_16_64 3
		.amdhsa_dx10_clamp 1
		.amdhsa_ieee_mode 1
		.amdhsa_fp16_overflow 0
		.amdhsa_workgroup_processor_mode 1
		.amdhsa_memory_ordered 1
		.amdhsa_forward_progress 0
		.amdhsa_shared_vgpr_count 0
		.amdhsa_exception_fp_ieee_invalid_op 0
		.amdhsa_exception_fp_denorm_src 0
		.amdhsa_exception_fp_ieee_div_zero 0
		.amdhsa_exception_fp_ieee_overflow 0
		.amdhsa_exception_fp_ieee_underflow 0
		.amdhsa_exception_fp_ieee_inexact 0
		.amdhsa_exception_int_div_zero 0
	.end_amdhsa_kernel
	.section	.text._ZN7ck_tileL11flush_cacheEv,"axG",@progbits,_ZN7ck_tileL11flush_cacheEv,comdat
.Lfunc_end0:
	.size	_ZN7ck_tileL11flush_cacheEv, .Lfunc_end0-_ZN7ck_tileL11flush_cacheEv
                                        ; -- End function
	.section	.AMDGPU.csdata,"",@progbits
; Kernel info:
; codeLenInByte = 344
; NumSgprs: 0
; NumVgprs: 0
; ScratchSize: 0
; MemoryBound: 0
; FloatMode: 240
; IeeeMode: 1
; LDSByteSize: 0 bytes/workgroup (compile time only)
; SGPRBlocks: 0
; VGPRBlocks: 0
; NumSGPRsForWavesPerEU: 1
; NumVGPRsForWavesPerEU: 1
; Occupancy: 16
; WaveLimiterHint : 0
; COMPUTE_PGM_RSRC2:SCRATCH_EN: 0
; COMPUTE_PGM_RSRC2:USER_SGPR: 15
; COMPUTE_PGM_RSRC2:TRAP_HANDLER: 0
; COMPUTE_PGM_RSRC2:TGID_X_EN: 1
; COMPUTE_PGM_RSRC2:TGID_Y_EN: 0
; COMPUTE_PGM_RSRC2:TGID_Z_EN: 0
; COMPUTE_PGM_RSRC2:TIDIG_COMP_CNT: 0
	.section	.text._ZN5aiter23fused_qk_rmsnorm_kernelIDF16_Li64ELi8ELb1ELi4EEEvPT_S2_PKS1_S4_S4_S4_ffiiiiiii,"axG",@progbits,_ZN5aiter23fused_qk_rmsnorm_kernelIDF16_Li64ELi8ELb1ELi4EEEvPT_S2_PKS1_S4_S4_S4_ffiiiiiii,comdat
	.protected	_ZN5aiter23fused_qk_rmsnorm_kernelIDF16_Li64ELi8ELb1ELi4EEEvPT_S2_PKS1_S4_S4_S4_ffiiiiiii ; -- Begin function _ZN5aiter23fused_qk_rmsnorm_kernelIDF16_Li64ELi8ELb1ELi4EEEvPT_S2_PKS1_S4_S4_S4_ffiiiiiii
	.globl	_ZN5aiter23fused_qk_rmsnorm_kernelIDF16_Li64ELi8ELb1ELi4EEEvPT_S2_PKS1_S4_S4_S4_ffiiiiiii
	.p2align	8
	.type	_ZN5aiter23fused_qk_rmsnorm_kernelIDF16_Li64ELi8ELb1ELi4EEEvPT_S2_PKS1_S4_S4_S4_ffiiiiiii,@function
_ZN5aiter23fused_qk_rmsnorm_kernelIDF16_Li64ELi8ELb1ELi4EEEvPT_S2_PKS1_S4_S4_S4_ffiiiiiii: ; @_ZN5aiter23fused_qk_rmsnorm_kernelIDF16_Li64ELi8ELb1ELi4EEEvPT_S2_PKS1_S4_S4_S4_ffiiiiiii
; %bb.0:
	s_load_b256 s[4:11], s[0:1], 0x30
	s_mov_b32 s2, s15
	s_mov_b32 s15, 0
	s_delay_alu instid0(SALU_CYCLE_1) | instskip(SKIP_3) | instid1(SALU_CYCLE_1)
	s_lshl_b64 s[12:13], s[14:15], 2
	s_waitcnt lgkmcnt(0)
	s_ashr_i32 s17, s6, 31
	s_mov_b32 s16, s6
	v_cmp_ge_i64_e64 s3, s[12:13], s[16:17]
	s_delay_alu instid0(VALU_DEP_1)
	s_and_b32 vcc_lo, exec_lo, s3
	s_cbranch_vccnz .LBB1_11
; %bb.1:
	s_clause 0x2
	s_load_b256 s[20:27], s[0:1], 0x0
	s_load_b128 s[28:31], s[0:1], 0x20
	s_load_b32 s0, s[0:1], 0x50
	s_cmp_eq_u32 s2, 0
	v_dual_mov_b32 v1, s4 :: v_dual_lshlrev_b32 v10, 4, v0
	s_cselect_b32 vcc_lo, -1, 0
	v_and_b32_e32 v11, 31, v0
	s_and_b32 s1, vcc_lo, exec_lo
	s_cselect_b32 s15, s7, s8
	s_cselect_b32 s8, s9, s10
	v_cndmask_b32_e32 v9, s5, v1, vcc_lo
	s_mul_i32 s3, s13, s8
	s_mov_b32 s7, -1
	v_and_b32_e32 v13, 1, v0
	v_lshrrev_b32_e32 v12, 3, v0
	s_delay_alu instid0(VALU_DEP_1)
	v_and_b32_e32 v0, 0x7c, v12
	s_waitcnt lgkmcnt(0)
	s_cselect_b32 s18, s25, s27
	s_cselect_b32 s19, s24, s26
	s_cselect_b32 s21, s21, s23
	s_cselect_b32 s20, s20, s22
	s_cselect_b32 s4, s28, s30
	s_cselect_b32 s2, s29, s31
	s_cselect_b32 s10, s11, s0
	s_ashr_i32 s9, s8, 31
	s_mul_hi_u32 s0, s12, s8
	s_mul_i32 s1, s12, s9
	v_cvt_f32_i32_e32 v12, s15
	s_add_i32 s1, s0, s1
	s_mul_i32 s0, s12, s8
	s_add_i32 s1, s1, s3
	s_delay_alu instid0(SALU_CYCLE_1) | instskip(NEXT) | instid1(SALU_CYCLE_1)
	s_lshl_b64 s[0:1], s[0:1], 1
	s_add_u32 s0, s19, s0
	s_addc_u32 s1, s18, s1
	s_add_i32 s3, s15, 1
	s_and_b32 s1, s1, 0xffff
	s_lshr_b32 s5, s3, 31
	s_ashr_i32 s11, s10, 31
	s_add_i32 s3, s3, s5
	s_and_b32 s5, s2, 0xffff
	s_lshl_b32 s3, s3, 1
	s_delay_alu instid0(SALU_CYCLE_1)
	s_and_b32 s6, s3, -4
	s_mov_b32 s3, s7
	buffer_load_b128 v[5:8], v10, s[4:7], 0 offen
	s_mov_b32 s2, s6
	buffer_load_b128 v[1:4], v10, s[0:3], 0 offen glc slc
	s_mul_hi_u32 s0, s10, s14
	s_mul_i32 s1, s11, s14
	s_mul_i32 s2, s10, s14
	s_add_i32 s3, s0, s1
	v_cmp_eq_u32_e64 s0, 31, v11
	s_lshl_b64 s[2:3], s[2:3], 3
	v_lshlrev_b32_e32 v11, 2, v13
	s_add_u32 s1, s20, s2
	s_addc_u32 s14, s21, s3
	s_lshl_b64 s[2:3], s[10:11], 1
	s_add_u32 s4, s12, 1
	s_addc_u32 s5, s13, 0
	s_mul_hi_u32 s10, s4, s8
	s_mul_i32 s11, s4, s9
	s_mul_i32 s5, s5, s8
	s_add_i32 s10, s10, s11
	s_mul_i32 s4, s4, s8
	s_add_i32 s5, s10, s5
	s_mov_b64 s[10:11], 0
	s_lshl_b64 s[4:5], s[4:5], 1
	s_delay_alu instid0(SALU_CYCLE_1)
	s_add_u32 s15, s19, s4
	s_addc_u32 s18, s18, s5
	s_lshl_b64 s[8:9], s[8:9], 1
	s_mov_b32 s19, 0x76543210
	s_waitcnt vmcnt(1)
	v_cvt_f32_f16_e32 v13, v5
	v_lshrrev_b32_e32 v5, 16, v5
	v_cvt_f32_f16_e32 v14, v6
	v_lshrrev_b32_e32 v6, 16, v6
	;; [unrolled: 2-line block ×3, first 2 shown]
	v_lshrrev_b32_e32 v20, 16, v8
	v_cvt_f32_f16_e32 v16, v8
	v_cvt_f32_f16_e32 v17, v5
	v_cvt_f32_f16_e32 v18, v6
	v_cvt_f32_f16_e32 v19, v7
	v_cvt_f32_f16_e32 v20, v20
	s_branch .LBB1_3
.LBB1_2:                                ;   in Loop: Header=BB1_3 Depth=1
	s_cmp_eq_u32 s10, 3
	s_waitcnt vmcnt(0)
	s_delay_alu instid0(VALU_DEP_1)
	v_dual_mov_b32 v1, v5 :: v_dual_mov_b32 v2, v6
	s_cselect_b32 s4, -1, 0
	v_dual_mov_b32 v3, v7 :: v_dual_mov_b32 v4, v8
	s_or_b32 s4, s20, s4
	s_add_u32 s10, s10, 1
	s_addc_u32 s11, s11, 0
	s_add_u32 s1, s1, s2
	s_addc_u32 s14, s14, s3
	;; [unrolled: 2-line block ×3, first 2 shown]
	s_and_not1_b32 vcc_lo, exec_lo, s4
	s_cbranch_vccz .LBB1_11
.LBB1_3:                                ; =>This Inner Loop Header: Depth=1
	s_add_u32 s4, s12, s10
	s_addc_u32 s5, s13, s11
                                        ; implicit-def: $vgpr5_vgpr6_vgpr7_vgpr8
	s_delay_alu instid0(SALU_CYCLE_1) | instskip(SKIP_1) | instid1(VALU_DEP_2)
	v_cmp_lt_i64_e64 s21, s[4:5], s[16:17]
	v_cmp_ge_i64_e64 s20, s[4:5], s[16:17]
	s_and_b32 vcc_lo, exec_lo, s21
	s_mov_b32 s21, -1
	s_cbranch_vccz .LBB1_9
; %bb.4:                                ;   in Loop: Header=BB1_3 Depth=1
	s_cmp_lg_u32 s10, 3
	s_waitcnt vmcnt(0)
	v_dual_mov_b32 v8, v4 :: v_dual_mov_b32 v7, v3
	s_cselect_b32 s21, -1, 0
	s_add_u32 s4, s4, 1
	s_addc_u32 s5, s5, 0
	v_dual_mov_b32 v6, v2 :: v_dual_mov_b32 v5, v1
	v_cmp_lt_i64_e64 s4, s[4:5], s[16:17]
	s_delay_alu instid0(VALU_DEP_1) | instskip(NEXT) | instid1(SALU_CYCLE_1)
	s_and_b32 s4, s21, s4
	s_and_not1_b32 vcc_lo, exec_lo, s4
	s_cbranch_vccnz .LBB1_6
; %bb.5:                                ;   in Loop: Header=BB1_3 Depth=1
	s_and_b32 s5, s18, 0xffff
	s_mov_b32 s4, s15
	buffer_load_b128 v[5:8], v10, s[4:7], 0 offen glc slc
.LBB1_6:                                ;   in Loop: Header=BB1_3 Depth=1
	v_lshrrev_b32_e32 v21, 16, v1
	s_delay_alu instid0(VALU_DEP_1) | instskip(NEXT) | instid1(VALU_DEP_1)
	v_cvt_f32_f16_e32 v21, v21
	v_mul_f32_e32 v22, v21, v21
	s_delay_alu instid0(VALU_DEP_1) | instskip(NEXT) | instid1(VALU_DEP_1)
	v_fma_mix_f32 v22, v1, v1, v22 op_sel_hi:[1,1,0]
	v_fma_mix_f32 v22, v2, v2, v22 op_sel_hi:[1,1,0]
	s_delay_alu instid0(VALU_DEP_1) | instskip(NEXT) | instid1(VALU_DEP_1)
	v_fma_mix_f32 v22, v2, v2, v22 op_sel:[1,1,0] op_sel_hi:[1,1,0]
	v_fma_mix_f32 v22, v3, v3, v22 op_sel_hi:[1,1,0]
	s_delay_alu instid0(VALU_DEP_1) | instskip(NEXT) | instid1(VALU_DEP_1)
	v_fma_mix_f32 v22, v3, v3, v22 op_sel:[1,1,0] op_sel_hi:[1,1,0]
	;; [unrolled: 3-line block ×3, first 2 shown]
	v_mov_b32_dpp v23, v22 quad_perm:[1,0,3,2] row_mask:0xf bank_mask:0xf
	s_delay_alu instid0(VALU_DEP_1) | instskip(NEXT) | instid1(VALU_DEP_1)
	v_add_f32_e32 v22, v22, v23
	v_mov_b32_dpp v23, v22 quad_perm:[2,3,0,1] row_mask:0xf bank_mask:0xf
	s_delay_alu instid0(VALU_DEP_1) | instskip(NEXT) | instid1(VALU_DEP_1)
	v_add_f32_e32 v22, v22, v23
	v_mov_b32_dpp v23, v22 row_xmask:7 row_mask:0xf bank_mask:0xf
	s_delay_alu instid0(VALU_DEP_1) | instskip(NEXT) | instid1(VALU_DEP_1)
	v_add_f32_e32 v22, v22, v23
	v_mov_b32_dpp v23, v22 row_xmask:15 row_mask:0xf bank_mask:0xf
	s_and_saveexec_b32 s4, s0
	s_cbranch_execz .LBB1_8
; %bb.7:                                ;   in Loop: Header=BB1_3 Depth=1
	s_delay_alu instid0(VALU_DEP_1) | instskip(NEXT) | instid1(VALU_DEP_1)
	v_add_f32_e32 v22, v22, v23
	v_permlanex16_b32 v23, v22, s19, 0xfedcba98 op_sel:[1,1]
	s_delay_alu instid0(VALU_DEP_1)
	v_add_f32_e32 v22, v22, v23
	ds_store_b32 v0, v22
.LBB1_8:                                ;   in Loop: Header=BB1_3 Depth=1
	s_or_b32 exec_lo, exec_lo, s4
	s_waitcnt vmcnt(0) lgkmcnt(0)
	s_waitcnt_vscnt null, 0x0
	s_barrier
	buffer_gl0_inv
	ds_load_b32 v22, v11
	v_cvt_f32_f16_e32 v28, v3
	v_lshrrev_b32_e32 v29, 16, v4
	s_and_b32 s5, s14, 0xffff
	s_mov_b32 s4, s1
	s_mov_b32 s21, 0
	s_delay_alu instid0(VALU_DEP_1) | instskip(SKIP_2) | instid1(VALU_DEP_1)
	v_cvt_f32_f16_e32 v29, v29
	s_waitcnt lgkmcnt(0)
	v_mov_b32_dpp v23, v22 quad_perm:[1,0,3,2] row_mask:0xf bank_mask:0xf
	v_add_f32_e32 v22, v22, v23
	s_delay_alu instid0(VALU_DEP_1) | instskip(SKIP_1) | instid1(VALU_DEP_2)
	v_div_scale_f32 v23, null, v12, v12, v22
	v_div_scale_f32 v26, vcc_lo, v22, v12, v22
	v_rcp_f32_e32 v24, v23
	s_waitcnt_depctr 0xfff
	v_fma_f32 v25, -v23, v24, 1.0
	s_delay_alu instid0(VALU_DEP_1) | instskip(NEXT) | instid1(VALU_DEP_1)
	v_fmac_f32_e32 v24, v25, v24
	v_mul_f32_e32 v25, v26, v24
	s_delay_alu instid0(VALU_DEP_1) | instskip(NEXT) | instid1(VALU_DEP_1)
	v_fma_f32 v27, -v23, v25, v26
	v_fmac_f32_e32 v25, v27, v24
	v_lshrrev_b32_e32 v27, 16, v3
	s_delay_alu instid0(VALU_DEP_2) | instskip(SKIP_1) | instid1(VALU_DEP_3)
	v_fma_f32 v23, -v23, v25, v26
	v_cvt_f32_f16_e32 v26, v2
	v_cvt_f32_f16_e32 v27, v27
	s_delay_alu instid0(VALU_DEP_3) | instskip(SKIP_1) | instid1(VALU_DEP_2)
	v_div_fmas_f32 v23, v23, v24, v25
	v_lshrrev_b32_e32 v24, 16, v2
	v_div_fixup_f32 v22, v23, v12, v22
	s_delay_alu instid0(VALU_DEP_2) | instskip(NEXT) | instid1(VALU_DEP_2)
	v_cvt_f32_f16_e32 v24, v24
	v_add_f32_e32 v22, v9, v22
	s_delay_alu instid0(VALU_DEP_1) | instskip(SKIP_1) | instid1(VALU_DEP_2)
	v_mul_f32_e32 v23, 0x4b800000, v22
	v_cmp_gt_f32_e32 vcc_lo, 0x800000, v22
	v_cndmask_b32_e32 v22, v22, v23, vcc_lo
	v_cvt_f32_f16_e32 v23, v1
	s_delay_alu instid0(VALU_DEP_2) | instskip(SKIP_2) | instid1(VALU_DEP_1)
	v_rsq_f32_e32 v22, v22
	s_waitcnt_depctr 0xfff
	v_mul_f32_e32 v25, 0x45800000, v22
	v_cndmask_b32_e32 v22, v22, v25, vcc_lo
	v_cvt_f32_f16_e32 v25, v4
	s_delay_alu instid0(VALU_DEP_2) | instskip(SKIP_1) | instid1(VALU_DEP_3)
	v_mul_f32_e32 v30, v22, v21
	v_mul_f32_e32 v21, v22, v23
	v_mul_f32_e32 v23, v22, v25
	v_mul_f32_e32 v25, v22, v28
	v_mul_f32_e32 v26, v22, v26
	v_mul_f32_e32 v31, v22, v24
	v_mul_f32_e32 v27, v22, v27
	v_mul_f32_e32 v28, v22, v29
	v_fma_mixlo_f16 v24, v23, v16, 0
	v_fma_mixlo_f16 v23, v25, v15, 0
	;; [unrolled: 1-line block ×4, first 2 shown]
	s_delay_alu instid0(VALU_DEP_4) | instskip(NEXT) | instid1(VALU_DEP_4)
	v_fma_mixhi_f16 v24, v28, v20, 0
	v_fma_mixhi_f16 v23, v27, v19, 0
	s_delay_alu instid0(VALU_DEP_4) | instskip(NEXT) | instid1(VALU_DEP_4)
	v_fma_mixhi_f16 v22, v31, v18, 0
	v_fma_mixhi_f16 v21, v30, v17, 0
	buffer_store_b128 v[21:24], v10, s[4:7], 0 offen
	;;#ASMSTART
	s_nop 0
	;;#ASMEND
.LBB1_9:                                ;   in Loop: Header=BB1_3 Depth=1
	s_and_b32 vcc_lo, exec_lo, s21
	s_cbranch_vccz .LBB1_2
; %bb.10:                               ;   in Loop: Header=BB1_3 Depth=1
	s_waitcnt vmcnt(0)
	v_dual_mov_b32 v8, v4 :: v_dual_mov_b32 v7, v3
	v_dual_mov_b32 v6, v2 :: v_dual_mov_b32 v5, v1
	s_branch .LBB1_2
.LBB1_11:
	s_nop 0
	s_sendmsg sendmsg(MSG_DEALLOC_VGPRS)
	s_endpgm
	.section	.rodata,"a",@progbits
	.p2align	6, 0x0
	.amdhsa_kernel _ZN5aiter23fused_qk_rmsnorm_kernelIDF16_Li64ELi8ELb1ELi4EEEvPT_S2_PKS1_S4_S4_S4_ffiiiiiii
		.amdhsa_group_segment_fixed_size 8
		.amdhsa_private_segment_fixed_size 0
		.amdhsa_kernarg_size 84
		.amdhsa_user_sgpr_count 14
		.amdhsa_user_sgpr_dispatch_ptr 0
		.amdhsa_user_sgpr_queue_ptr 0
		.amdhsa_user_sgpr_kernarg_segment_ptr 1
		.amdhsa_user_sgpr_dispatch_id 0
		.amdhsa_user_sgpr_private_segment_size 0
		.amdhsa_wavefront_size32 1
		.amdhsa_uses_dynamic_stack 0
		.amdhsa_enable_private_segment 0
		.amdhsa_system_sgpr_workgroup_id_x 1
		.amdhsa_system_sgpr_workgroup_id_y 1
		.amdhsa_system_sgpr_workgroup_id_z 0
		.amdhsa_system_sgpr_workgroup_info 0
		.amdhsa_system_vgpr_workitem_id 0
		.amdhsa_next_free_vgpr 32
		.amdhsa_next_free_sgpr 32
		.amdhsa_reserve_vcc 1
		.amdhsa_float_round_mode_32 0
		.amdhsa_float_round_mode_16_64 0
		.amdhsa_float_denorm_mode_32 3
		.amdhsa_float_denorm_mode_16_64 3
		.amdhsa_dx10_clamp 1
		.amdhsa_ieee_mode 1
		.amdhsa_fp16_overflow 0
		.amdhsa_workgroup_processor_mode 1
		.amdhsa_memory_ordered 1
		.amdhsa_forward_progress 0
		.amdhsa_shared_vgpr_count 0
		.amdhsa_exception_fp_ieee_invalid_op 0
		.amdhsa_exception_fp_denorm_src 0
		.amdhsa_exception_fp_ieee_div_zero 0
		.amdhsa_exception_fp_ieee_overflow 0
		.amdhsa_exception_fp_ieee_underflow 0
		.amdhsa_exception_fp_ieee_inexact 0
		.amdhsa_exception_int_div_zero 0
	.end_amdhsa_kernel
	.section	.text._ZN5aiter23fused_qk_rmsnorm_kernelIDF16_Li64ELi8ELb1ELi4EEEvPT_S2_PKS1_S4_S4_S4_ffiiiiiii,"axG",@progbits,_ZN5aiter23fused_qk_rmsnorm_kernelIDF16_Li64ELi8ELb1ELi4EEEvPT_S2_PKS1_S4_S4_S4_ffiiiiiii,comdat
.Lfunc_end1:
	.size	_ZN5aiter23fused_qk_rmsnorm_kernelIDF16_Li64ELi8ELb1ELi4EEEvPT_S2_PKS1_S4_S4_S4_ffiiiiiii, .Lfunc_end1-_ZN5aiter23fused_qk_rmsnorm_kernelIDF16_Li64ELi8ELb1ELi4EEEvPT_S2_PKS1_S4_S4_S4_ffiiiiiii
                                        ; -- End function
	.section	.AMDGPU.csdata,"",@progbits
; Kernel info:
; codeLenInByte = 1272
; NumSgprs: 34
; NumVgprs: 32
; ScratchSize: 0
; MemoryBound: 0
; FloatMode: 240
; IeeeMode: 1
; LDSByteSize: 8 bytes/workgroup (compile time only)
; SGPRBlocks: 4
; VGPRBlocks: 3
; NumSGPRsForWavesPerEU: 34
; NumVGPRsForWavesPerEU: 32
; Occupancy: 16
; WaveLimiterHint : 0
; COMPUTE_PGM_RSRC2:SCRATCH_EN: 0
; COMPUTE_PGM_RSRC2:USER_SGPR: 14
; COMPUTE_PGM_RSRC2:TRAP_HANDLER: 0
; COMPUTE_PGM_RSRC2:TGID_X_EN: 1
; COMPUTE_PGM_RSRC2:TGID_Y_EN: 1
; COMPUTE_PGM_RSRC2:TGID_Z_EN: 0
; COMPUTE_PGM_RSRC2:TIDIG_COMP_CNT: 0
	.section	.text._ZN5aiter23fused_qk_rmsnorm_kernelItLi64ELi8ELb1ELi4EEEvPT_S2_PKS1_S4_S4_S4_ffiiiiiii,"axG",@progbits,_ZN5aiter23fused_qk_rmsnorm_kernelItLi64ELi8ELb1ELi4EEEvPT_S2_PKS1_S4_S4_S4_ffiiiiiii,comdat
	.protected	_ZN5aiter23fused_qk_rmsnorm_kernelItLi64ELi8ELb1ELi4EEEvPT_S2_PKS1_S4_S4_S4_ffiiiiiii ; -- Begin function _ZN5aiter23fused_qk_rmsnorm_kernelItLi64ELi8ELb1ELi4EEEvPT_S2_PKS1_S4_S4_S4_ffiiiiiii
	.globl	_ZN5aiter23fused_qk_rmsnorm_kernelItLi64ELi8ELb1ELi4EEEvPT_S2_PKS1_S4_S4_S4_ffiiiiiii
	.p2align	8
	.type	_ZN5aiter23fused_qk_rmsnorm_kernelItLi64ELi8ELb1ELi4EEEvPT_S2_PKS1_S4_S4_S4_ffiiiiiii,@function
_ZN5aiter23fused_qk_rmsnorm_kernelItLi64ELi8ELb1ELi4EEEvPT_S2_PKS1_S4_S4_S4_ffiiiiiii: ; @_ZN5aiter23fused_qk_rmsnorm_kernelItLi64ELi8ELb1ELi4EEEvPT_S2_PKS1_S4_S4_S4_ffiiiiiii
; %bb.0:
	s_load_b256 s[4:11], s[0:1], 0x30
	s_mov_b32 s2, s15
	s_mov_b32 s15, 0
	s_delay_alu instid0(SALU_CYCLE_1) | instskip(SKIP_3) | instid1(SALU_CYCLE_1)
	s_lshl_b64 s[12:13], s[14:15], 2
	s_waitcnt lgkmcnt(0)
	s_ashr_i32 s17, s6, 31
	s_mov_b32 s16, s6
	v_cmp_ge_i64_e64 s3, s[12:13], s[16:17]
	s_delay_alu instid0(VALU_DEP_1)
	s_and_b32 vcc_lo, exec_lo, s3
	s_cbranch_vccnz .LBB2_11
; %bb.1:
	s_clause 0x2
	s_load_b256 s[20:27], s[0:1], 0x0
	s_load_b128 s[28:31], s[0:1], 0x20
	s_load_b32 s0, s[0:1], 0x50
	s_cmp_eq_u32 s2, 0
	v_dual_mov_b32 v1, s4 :: v_dual_lshlrev_b32 v10, 4, v0
	s_cselect_b32 vcc_lo, -1, 0
	v_and_b32_e32 v11, 31, v0
	s_and_b32 s1, vcc_lo, exec_lo
	s_cselect_b32 s15, s7, s8
	s_cselect_b32 s8, s9, s10
	v_cndmask_b32_e32 v9, s5, v1, vcc_lo
	s_mul_i32 s3, s13, s8
	s_mov_b32 s7, -1
	v_and_b32_e32 v13, 1, v0
	v_lshrrev_b32_e32 v12, 3, v0
	s_delay_alu instid0(VALU_DEP_1)
	v_and_b32_e32 v0, 0x7c, v12
	s_waitcnt lgkmcnt(0)
	s_cselect_b32 s18, s25, s27
	s_cselect_b32 s19, s24, s26
	;; [unrolled: 1-line block ×7, first 2 shown]
	s_ashr_i32 s9, s8, 31
	s_mul_hi_u32 s0, s12, s8
	s_mul_i32 s1, s12, s9
	v_cvt_f32_i32_e32 v12, s15
	s_add_i32 s1, s0, s1
	s_mul_i32 s0, s12, s8
	s_add_i32 s1, s1, s3
	s_delay_alu instid0(SALU_CYCLE_1) | instskip(NEXT) | instid1(SALU_CYCLE_1)
	s_lshl_b64 s[0:1], s[0:1], 1
	s_add_u32 s0, s19, s0
	s_addc_u32 s1, s18, s1
	s_add_i32 s3, s15, 1
	s_and_b32 s1, s1, 0xffff
	s_lshr_b32 s5, s3, 31
	s_ashr_i32 s11, s10, 31
	s_add_i32 s3, s3, s5
	s_and_b32 s5, s2, 0xffff
	s_lshl_b32 s3, s3, 1
	s_delay_alu instid0(SALU_CYCLE_1)
	s_and_b32 s6, s3, -4
	s_mov_b32 s3, s7
	buffer_load_b128 v[5:8], v10, s[4:7], 0 offen
	s_mov_b32 s2, s6
	buffer_load_b128 v[1:4], v10, s[0:3], 0 offen glc slc
	s_mul_hi_u32 s0, s10, s14
	s_mul_i32 s1, s11, s14
	s_mul_i32 s2, s10, s14
	s_add_i32 s3, s0, s1
	v_cmp_eq_u32_e64 s0, 31, v11
	s_lshl_b64 s[2:3], s[2:3], 3
	v_lshlrev_b32_e32 v11, 2, v13
	s_add_u32 s1, s20, s2
	s_addc_u32 s14, s21, s3
	s_lshl_b64 s[2:3], s[10:11], 1
	s_add_u32 s4, s12, 1
	s_addc_u32 s5, s13, 0
	s_mul_hi_u32 s10, s4, s8
	s_mul_i32 s11, s4, s9
	s_mul_i32 s5, s5, s8
	s_add_i32 s10, s10, s11
	s_mul_i32 s4, s4, s8
	s_add_i32 s5, s10, s5
	s_mov_b64 s[10:11], 0
	s_lshl_b64 s[4:5], s[4:5], 1
	s_delay_alu instid0(SALU_CYCLE_1)
	s_add_u32 s15, s19, s4
	s_addc_u32 s18, s18, s5
	s_lshl_b64 s[8:9], s[8:9], 1
	s_mov_b32 s19, 0x76543210
	s_waitcnt vmcnt(1)
	v_lshrrev_b32_e32 v13, 16, v5
	v_and_b32_e32 v5, 0xffff, v5
	v_lshrrev_b32_e32 v15, 16, v6
	v_and_b32_e32 v6, 0xffff, v6
	v_lshrrev_b32_e32 v17, 16, v7
	v_and_b32_e32 v7, 0xffff, v7
	v_lshrrev_b32_e32 v19, 16, v8
	v_and_b32_e32 v8, 0xffff, v8
	v_cvt_f32_u32_e32 v13, v13
	v_cvt_f32_u32_e32 v14, v5
	;; [unrolled: 1-line block ×8, first 2 shown]
	s_branch .LBB2_3
.LBB2_2:                                ;   in Loop: Header=BB2_3 Depth=1
	s_cmp_eq_u32 s10, 3
	s_waitcnt vmcnt(0)
	s_delay_alu instid0(VALU_DEP_1)
	v_dual_mov_b32 v1, v5 :: v_dual_mov_b32 v2, v6
	s_cselect_b32 s4, -1, 0
	v_dual_mov_b32 v3, v7 :: v_dual_mov_b32 v4, v8
	s_or_b32 s4, s20, s4
	s_add_u32 s10, s10, 1
	s_addc_u32 s11, s11, 0
	s_add_u32 s1, s1, s2
	s_addc_u32 s14, s14, s3
	;; [unrolled: 2-line block ×3, first 2 shown]
	s_and_not1_b32 vcc_lo, exec_lo, s4
	s_cbranch_vccz .LBB2_11
.LBB2_3:                                ; =>This Inner Loop Header: Depth=1
	s_add_u32 s4, s12, s10
	s_addc_u32 s5, s13, s11
                                        ; implicit-def: $vgpr5_vgpr6_vgpr7_vgpr8
	s_delay_alu instid0(SALU_CYCLE_1) | instskip(SKIP_1) | instid1(VALU_DEP_2)
	v_cmp_lt_i64_e64 s21, s[4:5], s[16:17]
	v_cmp_ge_i64_e64 s20, s[4:5], s[16:17]
	s_and_b32 vcc_lo, exec_lo, s21
	s_mov_b32 s21, -1
	s_cbranch_vccz .LBB2_9
; %bb.4:                                ;   in Loop: Header=BB2_3 Depth=1
	s_cmp_lg_u32 s10, 3
	s_waitcnt vmcnt(0)
	v_dual_mov_b32 v8, v4 :: v_dual_mov_b32 v7, v3
	s_cselect_b32 s21, -1, 0
	s_add_u32 s4, s4, 1
	s_addc_u32 s5, s5, 0
	v_dual_mov_b32 v6, v2 :: v_dual_mov_b32 v5, v1
	v_cmp_lt_i64_e64 s4, s[4:5], s[16:17]
	s_delay_alu instid0(VALU_DEP_1) | instskip(NEXT) | instid1(SALU_CYCLE_1)
	s_and_b32 s4, s21, s4
	s_and_not1_b32 vcc_lo, exec_lo, s4
	s_cbranch_vccnz .LBB2_6
; %bb.5:                                ;   in Loop: Header=BB2_3 Depth=1
	s_and_b32 s5, s18, 0xffff
	s_mov_b32 s4, s15
	buffer_load_b128 v[5:8], v10, s[4:7], 0 offen glc slc
.LBB2_6:                                ;   in Loop: Header=BB2_3 Depth=1
	v_and_b32_e32 v21, 0xffff0000, v1
	v_and_b32_e32 v27, 0xffff0000, v2
	;; [unrolled: 1-line block ×4, first 2 shown]
	v_lshlrev_b32_e32 v26, 16, v2
	v_lshlrev_b32_e32 v22, 16, v1
	v_dual_mul_f32 v29, v21, v21 :: v_dual_lshlrev_b32 v28, 16, v3
	s_delay_alu instid0(VALU_DEP_1) | instskip(NEXT) | instid1(VALU_DEP_1)
	v_dual_fmac_f32 v29, v22, v22 :: v_dual_lshlrev_b32 v24, 16, v4
	v_fmac_f32_e32 v29, v26, v26
	s_delay_alu instid0(VALU_DEP_1) | instskip(NEXT) | instid1(VALU_DEP_1)
	v_fmac_f32_e32 v29, v27, v27
	v_fmac_f32_e32 v29, v28, v28
	s_delay_alu instid0(VALU_DEP_1) | instskip(NEXT) | instid1(VALU_DEP_1)
	v_fmac_f32_e32 v29, v23, v23
	v_fmac_f32_e32 v29, v24, v24
	s_delay_alu instid0(VALU_DEP_1) | instskip(NEXT) | instid1(VALU_DEP_1)
	v_fmac_f32_e32 v29, v25, v25
	v_mov_b32_dpp v30, v29 quad_perm:[1,0,3,2] row_mask:0xf bank_mask:0xf
	s_delay_alu instid0(VALU_DEP_1) | instskip(NEXT) | instid1(VALU_DEP_1)
	v_add_f32_e32 v29, v29, v30
	v_mov_b32_dpp v30, v29 quad_perm:[2,3,0,1] row_mask:0xf bank_mask:0xf
	s_delay_alu instid0(VALU_DEP_1) | instskip(NEXT) | instid1(VALU_DEP_1)
	v_add_f32_e32 v29, v29, v30
	v_mov_b32_dpp v30, v29 row_xmask:7 row_mask:0xf bank_mask:0xf
	s_delay_alu instid0(VALU_DEP_1) | instskip(NEXT) | instid1(VALU_DEP_1)
	v_add_f32_e32 v29, v29, v30
	v_mov_b32_dpp v30, v29 row_xmask:15 row_mask:0xf bank_mask:0xf
	s_and_saveexec_b32 s4, s0
	s_cbranch_execz .LBB2_8
; %bb.7:                                ;   in Loop: Header=BB2_3 Depth=1
	s_delay_alu instid0(VALU_DEP_1) | instskip(NEXT) | instid1(VALU_DEP_1)
	v_add_f32_e32 v29, v29, v30
	v_permlanex16_b32 v30, v29, s19, 0xfedcba98 op_sel:[1,1]
	s_delay_alu instid0(VALU_DEP_1)
	v_add_f32_e32 v29, v29, v30
	ds_store_b32 v0, v29
.LBB2_8:                                ;   in Loop: Header=BB2_3 Depth=1
	s_or_b32 exec_lo, exec_lo, s4
	s_waitcnt vmcnt(0) lgkmcnt(0)
	s_waitcnt_vscnt null, 0x0
	s_barrier
	buffer_gl0_inv
	ds_load_b32 v29, v11
	s_and_b32 s5, s14, 0xffff
	s_mov_b32 s4, s1
	s_mov_b32 s21, 0
	s_waitcnt lgkmcnt(0)
	v_mov_b32_dpp v30, v29 quad_perm:[1,0,3,2] row_mask:0xf bank_mask:0xf
	s_delay_alu instid0(VALU_DEP_1) | instskip(NEXT) | instid1(VALU_DEP_1)
	v_add_f32_e32 v29, v29, v30
	v_div_scale_f32 v30, null, v12, v12, v29
	v_div_scale_f32 v33, vcc_lo, v29, v12, v29
	s_delay_alu instid0(VALU_DEP_2) | instskip(SKIP_2) | instid1(VALU_DEP_1)
	v_rcp_f32_e32 v31, v30
	s_waitcnt_depctr 0xfff
	v_fma_f32 v32, -v30, v31, 1.0
	v_fmac_f32_e32 v31, v32, v31
	s_delay_alu instid0(VALU_DEP_1) | instskip(NEXT) | instid1(VALU_DEP_1)
	v_mul_f32_e32 v32, v33, v31
	v_fma_f32 v34, -v30, v32, v33
	s_delay_alu instid0(VALU_DEP_1) | instskip(NEXT) | instid1(VALU_DEP_1)
	v_fmac_f32_e32 v32, v34, v31
	v_fma_f32 v30, -v30, v32, v33
	s_delay_alu instid0(VALU_DEP_1) | instskip(NEXT) | instid1(VALU_DEP_1)
	v_div_fmas_f32 v30, v30, v31, v32
	v_div_fixup_f32 v29, v30, v12, v29
	s_delay_alu instid0(VALU_DEP_1) | instskip(NEXT) | instid1(VALU_DEP_1)
	v_add_f32_e32 v29, v9, v29
	v_mul_f32_e32 v30, 0x4b800000, v29
	v_cmp_gt_f32_e32 vcc_lo, 0x800000, v29
	s_delay_alu instid0(VALU_DEP_2) | instskip(NEXT) | instid1(VALU_DEP_1)
	v_cndmask_b32_e32 v29, v29, v30, vcc_lo
	v_rsq_f32_e32 v29, v29
	s_waitcnt_depctr 0xfff
	v_mul_f32_e32 v30, 0x45800000, v29
	s_delay_alu instid0(VALU_DEP_1) | instskip(NEXT) | instid1(VALU_DEP_1)
	v_cndmask_b32_e32 v29, v29, v30, vcc_lo
	v_mul_f32_e32 v27, v29, v27
	v_mul_f32_e32 v28, v29, v28
	;; [unrolled: 1-line block ×9, first 2 shown]
	v_dual_mul_f32 v29, v22, v14 :: v_dual_mul_f32 v24, v24, v20
	s_delay_alu instid0(VALU_DEP_3) | instskip(SKIP_1) | instid1(VALU_DEP_4)
	v_dual_mul_f32 v23, v23, v17 :: v_dual_mul_f32 v22, v26, v16
	v_dual_mul_f32 v26, v28, v18 :: v_dual_mul_f32 v25, v25, v19
	v_mul_f32_e32 v21, v21, v13
	s_delay_alu instid0(VALU_DEP_3) | instskip(NEXT) | instid1(VALU_DEP_3)
	v_perm_b32 v22, v27, v22, 0x7060302
	v_perm_b32 v23, v23, v26, 0x7060302
	s_delay_alu instid0(VALU_DEP_4) | instskip(NEXT) | instid1(VALU_DEP_4)
	v_perm_b32 v24, v25, v24, 0x7060302
	v_perm_b32 v21, v21, v29, 0x7060302
	buffer_store_b128 v[21:24], v10, s[4:7], 0 offen
	;;#ASMSTART
	s_nop 0
	;;#ASMEND
.LBB2_9:                                ;   in Loop: Header=BB2_3 Depth=1
	s_and_b32 vcc_lo, exec_lo, s21
	s_cbranch_vccz .LBB2_2
; %bb.10:                               ;   in Loop: Header=BB2_3 Depth=1
	s_waitcnt vmcnt(0)
	v_dual_mov_b32 v8, v4 :: v_dual_mov_b32 v7, v3
	v_dual_mov_b32 v6, v2 :: v_dual_mov_b32 v5, v1
	s_branch .LBB2_2
.LBB2_11:
	s_nop 0
	s_sendmsg sendmsg(MSG_DEALLOC_VGPRS)
	s_endpgm
	.section	.rodata,"a",@progbits
	.p2align	6, 0x0
	.amdhsa_kernel _ZN5aiter23fused_qk_rmsnorm_kernelItLi64ELi8ELb1ELi4EEEvPT_S2_PKS1_S4_S4_S4_ffiiiiiii
		.amdhsa_group_segment_fixed_size 8
		.amdhsa_private_segment_fixed_size 0
		.amdhsa_kernarg_size 84
		.amdhsa_user_sgpr_count 14
		.amdhsa_user_sgpr_dispatch_ptr 0
		.amdhsa_user_sgpr_queue_ptr 0
		.amdhsa_user_sgpr_kernarg_segment_ptr 1
		.amdhsa_user_sgpr_dispatch_id 0
		.amdhsa_user_sgpr_private_segment_size 0
		.amdhsa_wavefront_size32 1
		.amdhsa_uses_dynamic_stack 0
		.amdhsa_enable_private_segment 0
		.amdhsa_system_sgpr_workgroup_id_x 1
		.amdhsa_system_sgpr_workgroup_id_y 1
		.amdhsa_system_sgpr_workgroup_id_z 0
		.amdhsa_system_sgpr_workgroup_info 0
		.amdhsa_system_vgpr_workitem_id 0
		.amdhsa_next_free_vgpr 35
		.amdhsa_next_free_sgpr 32
		.amdhsa_reserve_vcc 1
		.amdhsa_float_round_mode_32 0
		.amdhsa_float_round_mode_16_64 0
		.amdhsa_float_denorm_mode_32 3
		.amdhsa_float_denorm_mode_16_64 3
		.amdhsa_dx10_clamp 1
		.amdhsa_ieee_mode 1
		.amdhsa_fp16_overflow 0
		.amdhsa_workgroup_processor_mode 1
		.amdhsa_memory_ordered 1
		.amdhsa_forward_progress 0
		.amdhsa_shared_vgpr_count 0
		.amdhsa_exception_fp_ieee_invalid_op 0
		.amdhsa_exception_fp_denorm_src 0
		.amdhsa_exception_fp_ieee_div_zero 0
		.amdhsa_exception_fp_ieee_overflow 0
		.amdhsa_exception_fp_ieee_underflow 0
		.amdhsa_exception_fp_ieee_inexact 0
		.amdhsa_exception_int_div_zero 0
	.end_amdhsa_kernel
	.section	.text._ZN5aiter23fused_qk_rmsnorm_kernelItLi64ELi8ELb1ELi4EEEvPT_S2_PKS1_S4_S4_S4_ffiiiiiii,"axG",@progbits,_ZN5aiter23fused_qk_rmsnorm_kernelItLi64ELi8ELb1ELi4EEEvPT_S2_PKS1_S4_S4_S4_ffiiiiiii,comdat
.Lfunc_end2:
	.size	_ZN5aiter23fused_qk_rmsnorm_kernelItLi64ELi8ELb1ELi4EEEvPT_S2_PKS1_S4_S4_S4_ffiiiiiii, .Lfunc_end2-_ZN5aiter23fused_qk_rmsnorm_kernelItLi64ELi8ELb1ELi4EEEvPT_S2_PKS1_S4_S4_S4_ffiiiiiii
                                        ; -- End function
	.section	.AMDGPU.csdata,"",@progbits
; Kernel info:
; codeLenInByte = 1284
; NumSgprs: 34
; NumVgprs: 35
; ScratchSize: 0
; MemoryBound: 0
; FloatMode: 240
; IeeeMode: 1
; LDSByteSize: 8 bytes/workgroup (compile time only)
; SGPRBlocks: 4
; VGPRBlocks: 4
; NumSGPRsForWavesPerEU: 34
; NumVGPRsForWavesPerEU: 35
; Occupancy: 16
; WaveLimiterHint : 0
; COMPUTE_PGM_RSRC2:SCRATCH_EN: 0
; COMPUTE_PGM_RSRC2:USER_SGPR: 14
; COMPUTE_PGM_RSRC2:TRAP_HANDLER: 0
; COMPUTE_PGM_RSRC2:TGID_X_EN: 1
; COMPUTE_PGM_RSRC2:TGID_Y_EN: 1
; COMPUTE_PGM_RSRC2:TGID_Z_EN: 0
; COMPUTE_PGM_RSRC2:TIDIG_COMP_CNT: 0
	.section	.text._ZN5aiter23fused_qk_rmsnorm_kernelIDF16_Li64ELi8ELb1ELi1EEEvPT_S2_PKS1_S4_S4_S4_ffiiiiiii,"axG",@progbits,_ZN5aiter23fused_qk_rmsnorm_kernelIDF16_Li64ELi8ELb1ELi1EEEvPT_S2_PKS1_S4_S4_S4_ffiiiiiii,comdat
	.protected	_ZN5aiter23fused_qk_rmsnorm_kernelIDF16_Li64ELi8ELb1ELi1EEEvPT_S2_PKS1_S4_S4_S4_ffiiiiiii ; -- Begin function _ZN5aiter23fused_qk_rmsnorm_kernelIDF16_Li64ELi8ELb1ELi1EEEvPT_S2_PKS1_S4_S4_S4_ffiiiiiii
	.globl	_ZN5aiter23fused_qk_rmsnorm_kernelIDF16_Li64ELi8ELb1ELi1EEEvPT_S2_PKS1_S4_S4_S4_ffiiiiiii
	.p2align	8
	.type	_ZN5aiter23fused_qk_rmsnorm_kernelIDF16_Li64ELi8ELb1ELi1EEEvPT_S2_PKS1_S4_S4_S4_ffiiiiiii,@function
_ZN5aiter23fused_qk_rmsnorm_kernelIDF16_Li64ELi8ELb1ELi1EEEvPT_S2_PKS1_S4_S4_S4_ffiiiiiii: ; @_ZN5aiter23fused_qk_rmsnorm_kernelIDF16_Li64ELi8ELb1ELi1EEEvPT_S2_PKS1_S4_S4_S4_ffiiiiiii
; %bb.0:
	s_load_b256 s[4:11], s[0:1], 0x30
	s_mov_b32 s2, s15
	s_mov_b32 s15, 0
	s_waitcnt lgkmcnt(0)
	s_ashr_i32 s13, s6, 31
	s_mov_b32 s12, s6
	s_delay_alu instid0(SALU_CYCLE_1) | instskip(NEXT) | instid1(VALU_DEP_1)
	v_cmp_ge_i64_e64 s3, s[14:15], s[12:13]
	s_and_b32 vcc_lo, exec_lo, s3
	s_cbranch_vccnz .LBB3_4
; %bb.1:
	s_clause 0x1
	s_load_b256 s[16:23], s[0:1], 0x0
	s_load_b128 s[24:27], s[0:1], 0x20
	s_cmp_eq_u32 s2, 0
	s_load_b32 s0, s[0:1], 0x50
	s_cselect_b32 s2, -1, 0
	v_lshlrev_b32_e32 v5, 4, v0
	s_and_b32 s1, s2, exec_lo
	s_cselect_b32 s3, s9, s10
	s_cselect_b32 s1, s7, s8
	s_mul_hi_u32 s7, s3, s14
	v_and_b32_e32 v16, 31, v0
	s_waitcnt lgkmcnt(0)
	s_cselect_b32 s8, s21, s23
	s_cselect_b32 s9, s20, s22
	s_cselect_b32 s20, s24, s26
	s_cselect_b32 s10, s25, s27
	s_ashr_i32 s6, s3, 31
	s_mov_b32 s23, -1
	s_mul_i32 s12, s6, s14
	s_mul_i32 s6, s3, s14
	s_add_i32 s7, s7, s12
	s_mov_b32 s27, s23
	s_lshl_b64 s[6:7], s[6:7], 1
	s_delay_alu instid0(SALU_CYCLE_1)
	s_add_u32 s24, s9, s6
	s_addc_u32 s3, s8, s7
	s_add_i32 s6, s1, 1
	s_and_b32 s25, s3, 0xffff
	s_lshr_b32 s7, s6, 31
	s_and_b32 s21, s10, 0xffff
	s_add_i32 s6, s6, s7
	s_mov_b32 s3, exec_lo
	s_lshl_b32 s6, s6, 1
	s_delay_alu instid0(SALU_CYCLE_1) | instskip(NEXT) | instid1(SALU_CYCLE_1)
	s_and_b32 s22, s6, -4
	s_mov_b32 s26, s22
	buffer_load_b128 v[7:10], v5, s[24:27], 0 offen glc slc
	s_waitcnt vmcnt(0)
	v_lshrrev_b32_e32 v6, 16, v7
	v_lshrrev_b32_e32 v15, 16, v8
	;; [unrolled: 1-line block ×3, first 2 shown]
	s_delay_alu instid0(VALU_DEP_3) | instskip(NEXT) | instid1(VALU_DEP_1)
	v_cvt_f32_f16_e32 v6, v6
	v_mul_f32_e32 v11, v6, v6
	s_delay_alu instid0(VALU_DEP_1) | instskip(NEXT) | instid1(VALU_DEP_1)
	v_fma_mix_f32 v11, v7, v7, v11 op_sel_hi:[1,1,0]
	v_fma_mix_f32 v11, v8, v8, v11 op_sel_hi:[1,1,0]
	s_delay_alu instid0(VALU_DEP_1) | instskip(NEXT) | instid1(VALU_DEP_1)
	v_fma_mix_f32 v11, v8, v8, v11 op_sel:[1,1,0] op_sel_hi:[1,1,0]
	v_fma_mix_f32 v11, v9, v9, v11 op_sel_hi:[1,1,0]
	s_delay_alu instid0(VALU_DEP_1) | instskip(NEXT) | instid1(VALU_DEP_1)
	v_fma_mix_f32 v11, v9, v9, v11 op_sel:[1,1,0] op_sel_hi:[1,1,0]
	;; [unrolled: 3-line block ×3, first 2 shown]
	v_mov_b32_dpp v12, v11 quad_perm:[1,0,3,2] row_mask:0xf bank_mask:0xf
	s_delay_alu instid0(VALU_DEP_1) | instskip(NEXT) | instid1(VALU_DEP_1)
	v_add_f32_e32 v11, v11, v12
	v_mov_b32_dpp v12, v11 quad_perm:[2,3,0,1] row_mask:0xf bank_mask:0xf
	s_delay_alu instid0(VALU_DEP_1)
	v_add_f32_e32 v11, v11, v12
	v_cvt_f32_f16_e32 v12, v7
	v_cvt_f32_f16_e32 v7, v8
	;; [unrolled: 1-line block ×3, first 2 shown]
	v_lshrrev_b32_e32 v9, 16, v9
	v_mov_b32_dpp v13, v11 row_xmask:7 row_mask:0xf bank_mask:0xf
	s_delay_alu instid0(VALU_DEP_2) | instskip(NEXT) | instid1(VALU_DEP_2)
	v_cvt_f32_f16_e32 v9, v9
	v_add_f32_e32 v14, v11, v13
	buffer_load_b128 v[1:4], v5, s[20:23], 0 offen
	v_cvt_f32_f16_e32 v11, v10
	v_cvt_f32_f16_e32 v13, v15
	;; [unrolled: 1-line block ×3, first 2 shown]
	v_mov_b32_dpp v15, v14 row_xmask:15 row_mask:0xf bank_mask:0xf
	v_cmpx_eq_u32_e32 31, v16
	s_cbranch_execz .LBB3_3
; %bb.2:
	v_lshrrev_b32_e32 v16, 3, v0
	s_delay_alu instid0(VALU_DEP_3)
	v_add_f32_e32 v14, v14, v15
	s_mov_b32 s6, 0x76543210
	s_delay_alu instid0(VALU_DEP_1) | instid1(SALU_CYCLE_1)
	v_permlanex16_b32 v15, v14, s6, 0xfedcba98 op_sel:[1,1]
	s_delay_alu instid0(VALU_DEP_1)
	v_dual_add_f32 v14, v14, v15 :: v_dual_and_b32 v15, 0x7c, v16
	ds_store_b32 v15, v14
.LBB3_3:
	s_or_b32 exec_lo, exec_lo, s3
	v_and_b32_e32 v0, 1, v0
	s_waitcnt vmcnt(0) lgkmcnt(0)
	s_barrier
	buffer_gl0_inv
	v_cvt_f32_i32_e32 v15, s1
	v_lshlrev_b32_e32 v0, 2, v0
	s_and_b32 s1, s2, exec_lo
	s_cselect_b32 s0, s11, s0
	s_cselect_b32 s3, s16, s18
	ds_load_b32 v0, v0
	s_waitcnt lgkmcnt(0)
	v_mov_b32_dpp v14, v0 quad_perm:[1,0,3,2] row_mask:0xf bank_mask:0xf
	s_delay_alu instid0(VALU_DEP_1) | instskip(NEXT) | instid1(VALU_DEP_1)
	v_add_f32_e32 v0, v0, v14
	v_div_scale_f32 v14, null, v15, v15, v0
	v_div_scale_f32 v18, vcc_lo, v0, v15, v0
	s_delay_alu instid0(VALU_DEP_2) | instskip(SKIP_2) | instid1(VALU_DEP_1)
	v_rcp_f32_e32 v16, v14
	s_waitcnt_depctr 0xfff
	v_fma_f32 v17, -v14, v16, 1.0
	v_fmac_f32_e32 v16, v17, v16
	s_delay_alu instid0(VALU_DEP_1) | instskip(NEXT) | instid1(VALU_DEP_1)
	v_mul_f32_e32 v17, v18, v16
	v_fma_f32 v19, -v14, v17, v18
	s_delay_alu instid0(VALU_DEP_1) | instskip(NEXT) | instid1(VALU_DEP_1)
	v_fmac_f32_e32 v17, v19, v16
	v_fma_f32 v14, -v14, v17, v18
	v_mov_b32_e32 v18, s4
	s_mul_hi_u32 s4, s0, s14
	s_delay_alu instid0(VALU_DEP_2) | instskip(NEXT) | instid1(VALU_DEP_2)
	v_div_fmas_f32 v14, v14, v16, v17
	v_cndmask_b32_e64 v16, s5, v18, s2
	s_cselect_b32 s2, s17, s19
	s_ashr_i32 s1, s0, 31
	s_mul_i32 s0, s0, s14
	v_div_fixup_f32 v0, v14, v15, v0
	s_mul_i32 s1, s1, s14
	s_delay_alu instid0(SALU_CYCLE_1) | instskip(NEXT) | instid1(SALU_CYCLE_1)
	s_add_i32 s1, s4, s1
	s_lshl_b64 s[0:1], s[0:1], 1
	s_delay_alu instid0(VALU_DEP_1) | instskip(SKIP_2) | instid1(SALU_CYCLE_1)
	v_add_f32_e32 v0, v16, v0
	s_add_u32 s20, s3, s0
	s_addc_u32 s0, s2, s1
	s_and_b32 s21, s0, 0xffff
	s_delay_alu instid0(VALU_DEP_1) | instskip(SKIP_1) | instid1(VALU_DEP_2)
	v_mul_f32_e32 v14, 0x4b800000, v0
	v_cmp_gt_f32_e32 vcc_lo, 0x800000, v0
	v_cndmask_b32_e32 v0, v0, v14, vcc_lo
	s_delay_alu instid0(VALU_DEP_1) | instskip(SKIP_2) | instid1(VALU_DEP_1)
	v_rsq_f32_e32 v0, v0
	s_waitcnt_depctr 0xfff
	v_mul_f32_e32 v14, 0x45800000, v0
	v_cndmask_b32_e32 v0, v0, v14, vcc_lo
	s_delay_alu instid0(VALU_DEP_1)
	v_mul_f32_e32 v14, v0, v6
	v_mul_f32_e32 v6, v0, v12
	;; [unrolled: 1-line block ×8, first 2 shown]
	v_fma_mixlo_f16 v9, v11, v4, 0 op_sel_hi:[0,1,0]
	v_fma_mixlo_f16 v8, v8, v3, 0 op_sel_hi:[0,1,0]
	;; [unrolled: 1-line block ×4, first 2 shown]
	s_delay_alu instid0(VALU_DEP_4) | instskip(NEXT) | instid1(VALU_DEP_4)
	v_fma_mixhi_f16 v9, v0, v4, 0 op_sel:[0,1,0] op_sel_hi:[0,1,0]
	v_fma_mixhi_f16 v8, v13, v3, 0 op_sel:[0,1,0] op_sel_hi:[0,1,0]
	s_delay_alu instid0(VALU_DEP_4) | instskip(NEXT) | instid1(VALU_DEP_4)
	v_fma_mixhi_f16 v7, v12, v2, 0 op_sel:[0,1,0] op_sel_hi:[0,1,0]
	v_fma_mixhi_f16 v6, v14, v1, 0 op_sel:[0,1,0] op_sel_hi:[0,1,0]
	buffer_store_b128 v[6:9], v5, s[20:23], 0 offen
	;;#ASMSTART
	s_nop 0
	;;#ASMEND
.LBB3_4:
	s_nop 0
	s_sendmsg sendmsg(MSG_DEALLOC_VGPRS)
	s_endpgm
	.section	.rodata,"a",@progbits
	.p2align	6, 0x0
	.amdhsa_kernel _ZN5aiter23fused_qk_rmsnorm_kernelIDF16_Li64ELi8ELb1ELi1EEEvPT_S2_PKS1_S4_S4_S4_ffiiiiiii
		.amdhsa_group_segment_fixed_size 8
		.amdhsa_private_segment_fixed_size 0
		.amdhsa_kernarg_size 84
		.amdhsa_user_sgpr_count 14
		.amdhsa_user_sgpr_dispatch_ptr 0
		.amdhsa_user_sgpr_queue_ptr 0
		.amdhsa_user_sgpr_kernarg_segment_ptr 1
		.amdhsa_user_sgpr_dispatch_id 0
		.amdhsa_user_sgpr_private_segment_size 0
		.amdhsa_wavefront_size32 1
		.amdhsa_uses_dynamic_stack 0
		.amdhsa_enable_private_segment 0
		.amdhsa_system_sgpr_workgroup_id_x 1
		.amdhsa_system_sgpr_workgroup_id_y 1
		.amdhsa_system_sgpr_workgroup_id_z 0
		.amdhsa_system_sgpr_workgroup_info 0
		.amdhsa_system_vgpr_workitem_id 0
		.amdhsa_next_free_vgpr 20
		.amdhsa_next_free_sgpr 28
		.amdhsa_reserve_vcc 1
		.amdhsa_float_round_mode_32 0
		.amdhsa_float_round_mode_16_64 0
		.amdhsa_float_denorm_mode_32 3
		.amdhsa_float_denorm_mode_16_64 3
		.amdhsa_dx10_clamp 1
		.amdhsa_ieee_mode 1
		.amdhsa_fp16_overflow 0
		.amdhsa_workgroup_processor_mode 1
		.amdhsa_memory_ordered 1
		.amdhsa_forward_progress 0
		.amdhsa_shared_vgpr_count 0
		.amdhsa_exception_fp_ieee_invalid_op 0
		.amdhsa_exception_fp_denorm_src 0
		.amdhsa_exception_fp_ieee_div_zero 0
		.amdhsa_exception_fp_ieee_overflow 0
		.amdhsa_exception_fp_ieee_underflow 0
		.amdhsa_exception_fp_ieee_inexact 0
		.amdhsa_exception_int_div_zero 0
	.end_amdhsa_kernel
	.section	.text._ZN5aiter23fused_qk_rmsnorm_kernelIDF16_Li64ELi8ELb1ELi1EEEvPT_S2_PKS1_S4_S4_S4_ffiiiiiii,"axG",@progbits,_ZN5aiter23fused_qk_rmsnorm_kernelIDF16_Li64ELi8ELb1ELi1EEEvPT_S2_PKS1_S4_S4_S4_ffiiiiiii,comdat
.Lfunc_end3:
	.size	_ZN5aiter23fused_qk_rmsnorm_kernelIDF16_Li64ELi8ELb1ELi1EEEvPT_S2_PKS1_S4_S4_S4_ffiiiiiii, .Lfunc_end3-_ZN5aiter23fused_qk_rmsnorm_kernelIDF16_Li64ELi8ELb1ELi1EEEvPT_S2_PKS1_S4_S4_S4_ffiiiiiii
                                        ; -- End function
	.section	.AMDGPU.csdata,"",@progbits
; Kernel info:
; codeLenInByte = 916
; NumSgprs: 30
; NumVgprs: 20
; ScratchSize: 0
; MemoryBound: 0
; FloatMode: 240
; IeeeMode: 1
; LDSByteSize: 8 bytes/workgroup (compile time only)
; SGPRBlocks: 3
; VGPRBlocks: 2
; NumSGPRsForWavesPerEU: 30
; NumVGPRsForWavesPerEU: 20
; Occupancy: 16
; WaveLimiterHint : 0
; COMPUTE_PGM_RSRC2:SCRATCH_EN: 0
; COMPUTE_PGM_RSRC2:USER_SGPR: 14
; COMPUTE_PGM_RSRC2:TRAP_HANDLER: 0
; COMPUTE_PGM_RSRC2:TGID_X_EN: 1
; COMPUTE_PGM_RSRC2:TGID_Y_EN: 1
; COMPUTE_PGM_RSRC2:TGID_Z_EN: 0
; COMPUTE_PGM_RSRC2:TIDIG_COMP_CNT: 0
	.section	.text._ZN5aiter23fused_qk_rmsnorm_kernelItLi64ELi8ELb1ELi1EEEvPT_S2_PKS1_S4_S4_S4_ffiiiiiii,"axG",@progbits,_ZN5aiter23fused_qk_rmsnorm_kernelItLi64ELi8ELb1ELi1EEEvPT_S2_PKS1_S4_S4_S4_ffiiiiiii,comdat
	.protected	_ZN5aiter23fused_qk_rmsnorm_kernelItLi64ELi8ELb1ELi1EEEvPT_S2_PKS1_S4_S4_S4_ffiiiiiii ; -- Begin function _ZN5aiter23fused_qk_rmsnorm_kernelItLi64ELi8ELb1ELi1EEEvPT_S2_PKS1_S4_S4_S4_ffiiiiiii
	.globl	_ZN5aiter23fused_qk_rmsnorm_kernelItLi64ELi8ELb1ELi1EEEvPT_S2_PKS1_S4_S4_S4_ffiiiiiii
	.p2align	8
	.type	_ZN5aiter23fused_qk_rmsnorm_kernelItLi64ELi8ELb1ELi1EEEvPT_S2_PKS1_S4_S4_S4_ffiiiiiii,@function
_ZN5aiter23fused_qk_rmsnorm_kernelItLi64ELi8ELb1ELi1EEEvPT_S2_PKS1_S4_S4_S4_ffiiiiiii: ; @_ZN5aiter23fused_qk_rmsnorm_kernelItLi64ELi8ELb1ELi1EEEvPT_S2_PKS1_S4_S4_S4_ffiiiiiii
; %bb.0:
	s_load_b256 s[4:11], s[0:1], 0x30
	s_mov_b32 s2, s15
	s_mov_b32 s15, 0
	s_waitcnt lgkmcnt(0)
	s_ashr_i32 s13, s6, 31
	s_mov_b32 s12, s6
	s_delay_alu instid0(SALU_CYCLE_1) | instskip(NEXT) | instid1(VALU_DEP_1)
	v_cmp_ge_i64_e64 s3, s[14:15], s[12:13]
	s_and_b32 vcc_lo, exec_lo, s3
	s_cbranch_vccnz .LBB4_4
; %bb.1:
	s_clause 0x1
	s_load_b256 s[16:23], s[0:1], 0x0
	s_load_b128 s[24:27], s[0:1], 0x20
	s_cmp_eq_u32 s2, 0
	s_load_b32 s0, s[0:1], 0x50
	s_cselect_b32 s2, -1, 0
	v_lshlrev_b32_e32 v5, 4, v0
	s_and_b32 s1, s2, exec_lo
	s_cselect_b32 s3, s9, s10
	s_cselect_b32 s1, s7, s8
	s_mul_hi_u32 s7, s3, s14
	v_and_b32_e32 v16, 31, v0
	s_waitcnt lgkmcnt(0)
	s_cselect_b32 s8, s21, s23
	s_cselect_b32 s9, s20, s22
	;; [unrolled: 1-line block ×4, first 2 shown]
	s_ashr_i32 s6, s3, 31
	s_mov_b32 s23, -1
	s_mul_i32 s12, s6, s14
	s_mul_i32 s6, s3, s14
	s_add_i32 s7, s7, s12
	s_mov_b32 s27, s23
	s_lshl_b64 s[6:7], s[6:7], 1
	s_delay_alu instid0(SALU_CYCLE_1)
	s_add_u32 s24, s9, s6
	s_addc_u32 s3, s8, s7
	s_add_i32 s6, s1, 1
	s_and_b32 s25, s3, 0xffff
	s_lshr_b32 s7, s6, 31
	s_and_b32 s21, s10, 0xffff
	s_add_i32 s6, s6, s7
	s_mov_b32 s3, exec_lo
	s_lshl_b32 s6, s6, 1
	s_delay_alu instid0(SALU_CYCLE_1) | instskip(NEXT) | instid1(SALU_CYCLE_1)
	s_and_b32 s22, s6, -4
	s_mov_b32 s26, s22
	buffer_load_b128 v[10:13], v5, s[24:27], 0 offen glc slc
	s_waitcnt vmcnt(0)
	v_and_b32_e32 v6, 0xffff0000, v10
	v_lshlrev_b32_e32 v8, 16, v11
	v_lshlrev_b32_e32 v7, 16, v10
	;; [unrolled: 1-line block ×3, first 2 shown]
	s_delay_alu instid0(VALU_DEP_4) | instskip(SKIP_4) | instid1(VALU_DEP_1)
	v_dual_mul_f32 v14, v6, v6 :: v_dual_and_b32 v9, 0xffff0000, v11
	buffer_load_b128 v[1:4], v5, s[20:23], 0 offen
	v_and_b32_e32 v11, 0xffff0000, v12
	v_lshlrev_b32_e32 v12, 16, v13
	v_dual_fmac_f32 v14, v7, v7 :: v_dual_and_b32 v13, 0xffff0000, v13
	v_fmac_f32_e32 v14, v8, v8
	s_delay_alu instid0(VALU_DEP_1) | instskip(NEXT) | instid1(VALU_DEP_1)
	v_fmac_f32_e32 v14, v9, v9
	v_fmac_f32_e32 v14, v10, v10
	s_delay_alu instid0(VALU_DEP_1) | instskip(NEXT) | instid1(VALU_DEP_1)
	v_fmac_f32_e32 v14, v11, v11
	;; [unrolled: 3-line block ×3, first 2 shown]
	v_mov_b32_dpp v15, v14 quad_perm:[1,0,3,2] row_mask:0xf bank_mask:0xf
	s_delay_alu instid0(VALU_DEP_1) | instskip(NEXT) | instid1(VALU_DEP_1)
	v_add_f32_e32 v14, v14, v15
	v_mov_b32_dpp v15, v14 quad_perm:[2,3,0,1] row_mask:0xf bank_mask:0xf
	s_delay_alu instid0(VALU_DEP_1) | instskip(NEXT) | instid1(VALU_DEP_1)
	v_add_f32_e32 v14, v14, v15
	v_mov_b32_dpp v15, v14 row_xmask:7 row_mask:0xf bank_mask:0xf
	s_delay_alu instid0(VALU_DEP_1) | instskip(NEXT) | instid1(VALU_DEP_1)
	v_add_f32_e32 v14, v14, v15
	v_mov_b32_dpp v15, v14 row_xmask:15 row_mask:0xf bank_mask:0xf
	v_cmpx_eq_u32_e32 31, v16
	s_cbranch_execz .LBB4_3
; %bb.2:
	v_lshrrev_b32_e32 v16, 3, v0
	s_delay_alu instid0(VALU_DEP_3)
	v_add_f32_e32 v14, v14, v15
	s_mov_b32 s6, 0x76543210
	s_delay_alu instid0(VALU_DEP_1) | instid1(SALU_CYCLE_1)
	v_permlanex16_b32 v15, v14, s6, 0xfedcba98 op_sel:[1,1]
	s_delay_alu instid0(VALU_DEP_1)
	v_dual_add_f32 v14, v14, v15 :: v_dual_and_b32 v15, 0x7c, v16
	ds_store_b32 v15, v14
.LBB4_3:
	s_or_b32 exec_lo, exec_lo, s3
	v_and_b32_e32 v0, 1, v0
	s_waitcnt vmcnt(0) lgkmcnt(0)
	s_barrier
	buffer_gl0_inv
	v_cvt_f32_i32_e32 v15, s1
	v_lshlrev_b32_e32 v0, 2, v0
	s_and_b32 s1, s2, exec_lo
	s_cselect_b32 s0, s11, s0
	s_cselect_b32 s3, s16, s18
	ds_load_b32 v0, v0
	s_waitcnt lgkmcnt(0)
	v_mov_b32_dpp v14, v0 quad_perm:[1,0,3,2] row_mask:0xf bank_mask:0xf
	s_delay_alu instid0(VALU_DEP_1) | instskip(NEXT) | instid1(VALU_DEP_1)
	v_add_f32_e32 v0, v0, v14
	v_div_scale_f32 v14, null, v15, v15, v0
	v_div_scale_f32 v18, vcc_lo, v0, v15, v0
	s_delay_alu instid0(VALU_DEP_2) | instskip(SKIP_2) | instid1(VALU_DEP_1)
	v_rcp_f32_e32 v16, v14
	s_waitcnt_depctr 0xfff
	v_fma_f32 v17, -v14, v16, 1.0
	v_fmac_f32_e32 v16, v17, v16
	s_delay_alu instid0(VALU_DEP_1) | instskip(NEXT) | instid1(VALU_DEP_1)
	v_mul_f32_e32 v17, v18, v16
	v_fma_f32 v19, -v14, v17, v18
	s_delay_alu instid0(VALU_DEP_1) | instskip(NEXT) | instid1(VALU_DEP_1)
	v_fmac_f32_e32 v17, v19, v16
	v_fma_f32 v14, -v14, v17, v18
	v_mov_b32_e32 v18, s4
	s_mul_hi_u32 s4, s0, s14
	s_delay_alu instid0(VALU_DEP_2) | instskip(NEXT) | instid1(VALU_DEP_2)
	v_div_fmas_f32 v14, v14, v16, v17
	v_cndmask_b32_e64 v16, s5, v18, s2
	s_cselect_b32 s2, s17, s19
	s_ashr_i32 s1, s0, 31
	s_mul_i32 s0, s0, s14
	v_div_fixup_f32 v0, v14, v15, v0
	s_mul_i32 s1, s1, s14
	v_and_b32_e32 v17, 0xffff, v4
	v_lshrrev_b32_e32 v4, 16, v4
	s_add_i32 s1, s4, s1
	v_add_f32_e32 v0, v16, v0
	s_lshl_b64 s[0:1], s[0:1], 1
	v_cvt_f32_u32_e32 v17, v17
	v_cvt_f32_u32_e32 v4, v4
	s_add_u32 s20, s3, s0
	v_cmp_gt_f32_e32 vcc_lo, 0x800000, v0
	v_mul_f32_e32 v15, 0x4b800000, v0
	s_addc_u32 s0, s2, s1
	s_delay_alu instid0(SALU_CYCLE_1) | instskip(NEXT) | instid1(VALU_DEP_1)
	s_and_b32 s21, s0, 0xffff
	v_cndmask_b32_e32 v0, v0, v15, vcc_lo
	v_and_b32_e32 v15, 0xffff, v3
	v_lshrrev_b32_e32 v3, 16, v3
	s_delay_alu instid0(VALU_DEP_3) | instskip(NEXT) | instid1(VALU_DEP_2)
	v_rsq_f32_e32 v0, v0
	v_cvt_f32_u32_e32 v15, v15
	s_delay_alu instid0(VALU_DEP_2) | instskip(SKIP_2) | instid1(VALU_DEP_1)
	v_cvt_f32_u32_e32 v3, v3
	s_waitcnt_depctr 0xfff
	v_mul_f32_e32 v18, 0x45800000, v0
	v_cndmask_b32_e32 v0, v0, v18, vcc_lo
	v_and_b32_e32 v14, 0xffff, v1
	v_lshrrev_b32_e32 v1, 16, v1
	v_and_b32_e32 v16, 0xffff, v2
	v_lshrrev_b32_e32 v2, 16, v2
	v_mul_f32_e32 v9, v0, v9
	v_mul_f32_e32 v7, v0, v7
	v_cvt_f32_u32_e32 v14, v14
	v_cvt_f32_u32_e32 v1, v1
	;; [unrolled: 1-line block ×4, first 2 shown]
	v_mul_f32_e32 v6, v0, v6
	v_mul_f32_e32 v8, v0, v8
	v_mul_f32_e32 v10, v0, v10
	v_mul_f32_e32 v11, v0, v11
	v_mul_f32_e32 v12, v0, v12
	v_dual_mul_f32 v0, v0, v13 :: v_dual_mul_f32 v7, v7, v14
	v_mul_f32_e32 v8, v8, v16
	v_mul_f32_e32 v10, v10, v15
	s_delay_alu instid0(VALU_DEP_4) | instskip(NEXT) | instid1(VALU_DEP_4)
	v_mul_f32_e32 v12, v12, v17
	v_mul_f32_e32 v0, v0, v4
	v_dual_mul_f32 v4, v11, v3 :: v_dual_mul_f32 v9, v9, v2
	v_mul_f32_e32 v6, v6, v1
	s_delay_alu instid0(VALU_DEP_3) | instskip(NEXT) | instid1(VALU_DEP_3)
	v_perm_b32 v3, v0, v12, 0x7060302
	v_perm_b32 v2, v4, v10, 0x7060302
	s_delay_alu instid0(VALU_DEP_4) | instskip(NEXT) | instid1(VALU_DEP_4)
	v_perm_b32 v1, v9, v8, 0x7060302
	v_perm_b32 v0, v6, v7, 0x7060302
	buffer_store_b128 v[0:3], v5, s[20:23], 0 offen
	;;#ASMSTART
	s_nop 0
	;;#ASMEND
.LBB4_4:
	s_nop 0
	s_sendmsg sendmsg(MSG_DEALLOC_VGPRS)
	s_endpgm
	.section	.rodata,"a",@progbits
	.p2align	6, 0x0
	.amdhsa_kernel _ZN5aiter23fused_qk_rmsnorm_kernelItLi64ELi8ELb1ELi1EEEvPT_S2_PKS1_S4_S4_S4_ffiiiiiii
		.amdhsa_group_segment_fixed_size 8
		.amdhsa_private_segment_fixed_size 0
		.amdhsa_kernarg_size 84
		.amdhsa_user_sgpr_count 14
		.amdhsa_user_sgpr_dispatch_ptr 0
		.amdhsa_user_sgpr_queue_ptr 0
		.amdhsa_user_sgpr_kernarg_segment_ptr 1
		.amdhsa_user_sgpr_dispatch_id 0
		.amdhsa_user_sgpr_private_segment_size 0
		.amdhsa_wavefront_size32 1
		.amdhsa_uses_dynamic_stack 0
		.amdhsa_enable_private_segment 0
		.amdhsa_system_sgpr_workgroup_id_x 1
		.amdhsa_system_sgpr_workgroup_id_y 1
		.amdhsa_system_sgpr_workgroup_id_z 0
		.amdhsa_system_sgpr_workgroup_info 0
		.amdhsa_system_vgpr_workitem_id 0
		.amdhsa_next_free_vgpr 20
		.amdhsa_next_free_sgpr 28
		.amdhsa_reserve_vcc 1
		.amdhsa_float_round_mode_32 0
		.amdhsa_float_round_mode_16_64 0
		.amdhsa_float_denorm_mode_32 3
		.amdhsa_float_denorm_mode_16_64 3
		.amdhsa_dx10_clamp 1
		.amdhsa_ieee_mode 1
		.amdhsa_fp16_overflow 0
		.amdhsa_workgroup_processor_mode 1
		.amdhsa_memory_ordered 1
		.amdhsa_forward_progress 0
		.amdhsa_shared_vgpr_count 0
		.amdhsa_exception_fp_ieee_invalid_op 0
		.amdhsa_exception_fp_denorm_src 0
		.amdhsa_exception_fp_ieee_div_zero 0
		.amdhsa_exception_fp_ieee_overflow 0
		.amdhsa_exception_fp_ieee_underflow 0
		.amdhsa_exception_fp_ieee_inexact 0
		.amdhsa_exception_int_div_zero 0
	.end_amdhsa_kernel
	.section	.text._ZN5aiter23fused_qk_rmsnorm_kernelItLi64ELi8ELb1ELi1EEEvPT_S2_PKS1_S4_S4_S4_ffiiiiiii,"axG",@progbits,_ZN5aiter23fused_qk_rmsnorm_kernelItLi64ELi8ELb1ELi1EEEvPT_S2_PKS1_S4_S4_S4_ffiiiiiii,comdat
.Lfunc_end4:
	.size	_ZN5aiter23fused_qk_rmsnorm_kernelItLi64ELi8ELb1ELi1EEEvPT_S2_PKS1_S4_S4_S4_ffiiiiiii, .Lfunc_end4-_ZN5aiter23fused_qk_rmsnorm_kernelItLi64ELi8ELb1ELi1EEEvPT_S2_PKS1_S4_S4_S4_ffiiiiiii
                                        ; -- End function
	.section	.AMDGPU.csdata,"",@progbits
; Kernel info:
; codeLenInByte = 976
; NumSgprs: 30
; NumVgprs: 20
; ScratchSize: 0
; MemoryBound: 0
; FloatMode: 240
; IeeeMode: 1
; LDSByteSize: 8 bytes/workgroup (compile time only)
; SGPRBlocks: 3
; VGPRBlocks: 2
; NumSGPRsForWavesPerEU: 30
; NumVGPRsForWavesPerEU: 20
; Occupancy: 16
; WaveLimiterHint : 0
; COMPUTE_PGM_RSRC2:SCRATCH_EN: 0
; COMPUTE_PGM_RSRC2:USER_SGPR: 14
; COMPUTE_PGM_RSRC2:TRAP_HANDLER: 0
; COMPUTE_PGM_RSRC2:TGID_X_EN: 1
; COMPUTE_PGM_RSRC2:TGID_Y_EN: 1
; COMPUTE_PGM_RSRC2:TGID_Z_EN: 0
; COMPUTE_PGM_RSRC2:TIDIG_COMP_CNT: 0
	.section	.text._ZN5aiter23fused_qk_rmsnorm_kernelIDF16_Li128ELi8ELb1ELi4EEEvPT_S2_PKS1_S4_S4_S4_ffiiiiiii,"axG",@progbits,_ZN5aiter23fused_qk_rmsnorm_kernelIDF16_Li128ELi8ELb1ELi4EEEvPT_S2_PKS1_S4_S4_S4_ffiiiiiii,comdat
	.protected	_ZN5aiter23fused_qk_rmsnorm_kernelIDF16_Li128ELi8ELb1ELi4EEEvPT_S2_PKS1_S4_S4_S4_ffiiiiiii ; -- Begin function _ZN5aiter23fused_qk_rmsnorm_kernelIDF16_Li128ELi8ELb1ELi4EEEvPT_S2_PKS1_S4_S4_S4_ffiiiiiii
	.globl	_ZN5aiter23fused_qk_rmsnorm_kernelIDF16_Li128ELi8ELb1ELi4EEEvPT_S2_PKS1_S4_S4_S4_ffiiiiiii
	.p2align	8
	.type	_ZN5aiter23fused_qk_rmsnorm_kernelIDF16_Li128ELi8ELb1ELi4EEEvPT_S2_PKS1_S4_S4_S4_ffiiiiiii,@function
_ZN5aiter23fused_qk_rmsnorm_kernelIDF16_Li128ELi8ELb1ELi4EEEvPT_S2_PKS1_S4_S4_S4_ffiiiiiii: ; @_ZN5aiter23fused_qk_rmsnorm_kernelIDF16_Li128ELi8ELb1ELi4EEEvPT_S2_PKS1_S4_S4_S4_ffiiiiiii
; %bb.0:
	s_load_b256 s[4:11], s[0:1], 0x30
	s_mov_b32 s2, s15
	s_mov_b32 s15, 0
	s_delay_alu instid0(SALU_CYCLE_1) | instskip(SKIP_3) | instid1(SALU_CYCLE_1)
	s_lshl_b64 s[12:13], s[14:15], 2
	s_waitcnt lgkmcnt(0)
	s_ashr_i32 s17, s6, 31
	s_mov_b32 s16, s6
	v_cmp_ge_i64_e64 s3, s[12:13], s[16:17]
	s_delay_alu instid0(VALU_DEP_1)
	s_and_b32 vcc_lo, exec_lo, s3
	s_cbranch_vccnz .LBB5_11
; %bb.1:
	s_clause 0x2
	s_load_b256 s[20:27], s[0:1], 0x0
	s_load_b128 s[28:31], s[0:1], 0x20
	s_load_b32 s0, s[0:1], 0x50
	s_cmp_eq_u32 s2, 0
	v_dual_mov_b32 v1, s4 :: v_dual_lshlrev_b32 v10, 4, v0
	s_cselect_b32 vcc_lo, -1, 0
	v_and_b32_e32 v11, 31, v0
	s_and_b32 s1, vcc_lo, exec_lo
	s_cselect_b32 s15, s7, s8
	s_cselect_b32 s8, s9, s10
	v_cndmask_b32_e32 v9, s5, v1, vcc_lo
	s_mul_i32 s3, s13, s8
	s_mov_b32 s7, -1
	v_and_b32_e32 v13, 3, v0
	v_lshrrev_b32_e32 v12, 3, v0
	s_delay_alu instid0(VALU_DEP_1)
	v_and_b32_e32 v0, 0x7c, v12
	s_waitcnt lgkmcnt(0)
	s_cselect_b32 s18, s25, s27
	s_cselect_b32 s19, s24, s26
	;; [unrolled: 1-line block ×7, first 2 shown]
	s_ashr_i32 s9, s8, 31
	s_mul_hi_u32 s0, s12, s8
	s_mul_i32 s1, s12, s9
	v_cvt_f32_i32_e32 v12, s15
	s_add_i32 s1, s0, s1
	s_mul_i32 s0, s12, s8
	s_add_i32 s1, s1, s3
	s_delay_alu instid0(SALU_CYCLE_1) | instskip(NEXT) | instid1(SALU_CYCLE_1)
	s_lshl_b64 s[0:1], s[0:1], 1
	s_add_u32 s0, s19, s0
	s_addc_u32 s1, s18, s1
	s_add_i32 s3, s15, 1
	s_and_b32 s1, s1, 0xffff
	s_lshr_b32 s5, s3, 31
	s_ashr_i32 s11, s10, 31
	s_add_i32 s3, s3, s5
	s_and_b32 s5, s2, 0xffff
	s_lshl_b32 s3, s3, 1
	s_delay_alu instid0(SALU_CYCLE_1)
	s_and_b32 s6, s3, -4
	s_mov_b32 s3, s7
	buffer_load_b128 v[5:8], v10, s[4:7], 0 offen
	s_mov_b32 s2, s6
	buffer_load_b128 v[1:4], v10, s[0:3], 0 offen glc slc
	s_mul_hi_u32 s0, s10, s14
	s_mul_i32 s1, s11, s14
	s_mul_i32 s2, s10, s14
	s_add_i32 s3, s0, s1
	v_cmp_eq_u32_e64 s0, 31, v11
	s_lshl_b64 s[2:3], s[2:3], 3
	v_lshlrev_b32_e32 v11, 2, v13
	s_add_u32 s1, s20, s2
	s_addc_u32 s14, s21, s3
	s_lshl_b64 s[2:3], s[10:11], 1
	s_add_u32 s4, s12, 1
	s_addc_u32 s5, s13, 0
	s_mul_hi_u32 s10, s4, s8
	s_mul_i32 s11, s4, s9
	s_mul_i32 s5, s5, s8
	s_add_i32 s10, s10, s11
	s_mul_i32 s4, s4, s8
	s_add_i32 s5, s10, s5
	s_mov_b64 s[10:11], 0
	s_lshl_b64 s[4:5], s[4:5], 1
	s_delay_alu instid0(SALU_CYCLE_1)
	s_add_u32 s15, s19, s4
	s_addc_u32 s18, s18, s5
	s_lshl_b64 s[8:9], s[8:9], 1
	s_mov_b32 s19, 0x76543210
	s_waitcnt vmcnt(1)
	v_cvt_f32_f16_e32 v13, v5
	v_lshrrev_b32_e32 v5, 16, v5
	v_cvt_f32_f16_e32 v14, v6
	v_lshrrev_b32_e32 v6, 16, v6
	;; [unrolled: 2-line block ×3, first 2 shown]
	v_lshrrev_b32_e32 v20, 16, v8
	v_cvt_f32_f16_e32 v16, v8
	v_cvt_f32_f16_e32 v17, v5
	;; [unrolled: 1-line block ×5, first 2 shown]
	s_branch .LBB5_3
.LBB5_2:                                ;   in Loop: Header=BB5_3 Depth=1
	s_cmp_eq_u32 s10, 3
	s_waitcnt vmcnt(0)
	s_delay_alu instid0(VALU_DEP_1)
	v_dual_mov_b32 v1, v5 :: v_dual_mov_b32 v2, v6
	s_cselect_b32 s4, -1, 0
	v_dual_mov_b32 v3, v7 :: v_dual_mov_b32 v4, v8
	s_or_b32 s4, s20, s4
	s_add_u32 s10, s10, 1
	s_addc_u32 s11, s11, 0
	s_add_u32 s1, s1, s2
	s_addc_u32 s14, s14, s3
	;; [unrolled: 2-line block ×3, first 2 shown]
	s_and_not1_b32 vcc_lo, exec_lo, s4
	s_cbranch_vccz .LBB5_11
.LBB5_3:                                ; =>This Inner Loop Header: Depth=1
	s_add_u32 s4, s12, s10
	s_addc_u32 s5, s13, s11
                                        ; implicit-def: $vgpr5_vgpr6_vgpr7_vgpr8
	s_delay_alu instid0(SALU_CYCLE_1) | instskip(SKIP_1) | instid1(VALU_DEP_2)
	v_cmp_lt_i64_e64 s21, s[4:5], s[16:17]
	v_cmp_ge_i64_e64 s20, s[4:5], s[16:17]
	s_and_b32 vcc_lo, exec_lo, s21
	s_mov_b32 s21, -1
	s_cbranch_vccz .LBB5_9
; %bb.4:                                ;   in Loop: Header=BB5_3 Depth=1
	s_cmp_lg_u32 s10, 3
	s_waitcnt vmcnt(0)
	v_dual_mov_b32 v8, v4 :: v_dual_mov_b32 v7, v3
	s_cselect_b32 s21, -1, 0
	s_add_u32 s4, s4, 1
	s_addc_u32 s5, s5, 0
	v_dual_mov_b32 v6, v2 :: v_dual_mov_b32 v5, v1
	v_cmp_lt_i64_e64 s4, s[4:5], s[16:17]
	s_delay_alu instid0(VALU_DEP_1) | instskip(NEXT) | instid1(SALU_CYCLE_1)
	s_and_b32 s4, s21, s4
	s_and_not1_b32 vcc_lo, exec_lo, s4
	s_cbranch_vccnz .LBB5_6
; %bb.5:                                ;   in Loop: Header=BB5_3 Depth=1
	s_and_b32 s5, s18, 0xffff
	s_mov_b32 s4, s15
	buffer_load_b128 v[5:8], v10, s[4:7], 0 offen glc slc
.LBB5_6:                                ;   in Loop: Header=BB5_3 Depth=1
	v_lshrrev_b32_e32 v21, 16, v1
	s_delay_alu instid0(VALU_DEP_1) | instskip(NEXT) | instid1(VALU_DEP_1)
	v_cvt_f32_f16_e32 v21, v21
	v_mul_f32_e32 v22, v21, v21
	s_delay_alu instid0(VALU_DEP_1) | instskip(NEXT) | instid1(VALU_DEP_1)
	v_fma_mix_f32 v22, v1, v1, v22 op_sel_hi:[1,1,0]
	v_fma_mix_f32 v22, v2, v2, v22 op_sel_hi:[1,1,0]
	s_delay_alu instid0(VALU_DEP_1) | instskip(NEXT) | instid1(VALU_DEP_1)
	v_fma_mix_f32 v22, v2, v2, v22 op_sel:[1,1,0] op_sel_hi:[1,1,0]
	v_fma_mix_f32 v22, v3, v3, v22 op_sel_hi:[1,1,0]
	s_delay_alu instid0(VALU_DEP_1) | instskip(NEXT) | instid1(VALU_DEP_1)
	v_fma_mix_f32 v22, v3, v3, v22 op_sel:[1,1,0] op_sel_hi:[1,1,0]
	;; [unrolled: 3-line block ×3, first 2 shown]
	v_mov_b32_dpp v23, v22 quad_perm:[1,0,3,2] row_mask:0xf bank_mask:0xf
	s_delay_alu instid0(VALU_DEP_1) | instskip(NEXT) | instid1(VALU_DEP_1)
	v_add_f32_e32 v22, v22, v23
	v_mov_b32_dpp v23, v22 quad_perm:[2,3,0,1] row_mask:0xf bank_mask:0xf
	s_delay_alu instid0(VALU_DEP_1) | instskip(NEXT) | instid1(VALU_DEP_1)
	v_add_f32_e32 v22, v22, v23
	v_mov_b32_dpp v23, v22 row_xmask:7 row_mask:0xf bank_mask:0xf
	s_delay_alu instid0(VALU_DEP_1) | instskip(NEXT) | instid1(VALU_DEP_1)
	v_add_f32_e32 v22, v22, v23
	v_mov_b32_dpp v23, v22 row_xmask:15 row_mask:0xf bank_mask:0xf
	s_and_saveexec_b32 s4, s0
	s_cbranch_execz .LBB5_8
; %bb.7:                                ;   in Loop: Header=BB5_3 Depth=1
	s_delay_alu instid0(VALU_DEP_1) | instskip(NEXT) | instid1(VALU_DEP_1)
	v_add_f32_e32 v22, v22, v23
	v_permlanex16_b32 v23, v22, s19, 0xfedcba98 op_sel:[1,1]
	s_delay_alu instid0(VALU_DEP_1)
	v_add_f32_e32 v22, v22, v23
	ds_store_b32 v0, v22
.LBB5_8:                                ;   in Loop: Header=BB5_3 Depth=1
	s_or_b32 exec_lo, exec_lo, s4
	s_waitcnt vmcnt(0) lgkmcnt(0)
	s_waitcnt_vscnt null, 0x0
	s_barrier
	buffer_gl0_inv
	ds_load_b32 v22, v11
	v_cvt_f32_f16_e32 v28, v3
	v_lshrrev_b32_e32 v29, 16, v4
	s_and_b32 s5, s14, 0xffff
	s_mov_b32 s4, s1
	s_mov_b32 s21, 0
	s_delay_alu instid0(VALU_DEP_1) | instskip(SKIP_2) | instid1(VALU_DEP_1)
	v_cvt_f32_f16_e32 v29, v29
	s_waitcnt lgkmcnt(0)
	v_mov_b32_dpp v23, v22 quad_perm:[1,0,3,2] row_mask:0xf bank_mask:0xf
	v_add_f32_e32 v22, v22, v23
	s_delay_alu instid0(VALU_DEP_1) | instskip(NEXT) | instid1(VALU_DEP_1)
	v_mov_b32_dpp v23, v22 quad_perm:[2,3,0,1] row_mask:0xf bank_mask:0xf
	v_add_f32_e32 v22, v22, v23
	s_delay_alu instid0(VALU_DEP_1) | instskip(SKIP_1) | instid1(VALU_DEP_2)
	v_div_scale_f32 v23, null, v12, v12, v22
	v_div_scale_f32 v26, vcc_lo, v22, v12, v22
	v_rcp_f32_e32 v24, v23
	s_waitcnt_depctr 0xfff
	v_fma_f32 v25, -v23, v24, 1.0
	s_delay_alu instid0(VALU_DEP_1) | instskip(NEXT) | instid1(VALU_DEP_1)
	v_fmac_f32_e32 v24, v25, v24
	v_mul_f32_e32 v25, v26, v24
	s_delay_alu instid0(VALU_DEP_1) | instskip(NEXT) | instid1(VALU_DEP_1)
	v_fma_f32 v27, -v23, v25, v26
	v_fmac_f32_e32 v25, v27, v24
	v_lshrrev_b32_e32 v27, 16, v3
	s_delay_alu instid0(VALU_DEP_2) | instskip(SKIP_1) | instid1(VALU_DEP_3)
	v_fma_f32 v23, -v23, v25, v26
	v_cvt_f32_f16_e32 v26, v2
	v_cvt_f32_f16_e32 v27, v27
	s_delay_alu instid0(VALU_DEP_3) | instskip(SKIP_1) | instid1(VALU_DEP_2)
	v_div_fmas_f32 v23, v23, v24, v25
	v_lshrrev_b32_e32 v24, 16, v2
	v_div_fixup_f32 v22, v23, v12, v22
	s_delay_alu instid0(VALU_DEP_2) | instskip(NEXT) | instid1(VALU_DEP_2)
	v_cvt_f32_f16_e32 v24, v24
	v_add_f32_e32 v22, v9, v22
	s_delay_alu instid0(VALU_DEP_1) | instskip(SKIP_1) | instid1(VALU_DEP_2)
	v_mul_f32_e32 v23, 0x4b800000, v22
	v_cmp_gt_f32_e32 vcc_lo, 0x800000, v22
	v_cndmask_b32_e32 v22, v22, v23, vcc_lo
	v_cvt_f32_f16_e32 v23, v1
	s_delay_alu instid0(VALU_DEP_2) | instskip(SKIP_2) | instid1(VALU_DEP_1)
	v_rsq_f32_e32 v22, v22
	s_waitcnt_depctr 0xfff
	v_mul_f32_e32 v25, 0x45800000, v22
	v_cndmask_b32_e32 v22, v22, v25, vcc_lo
	v_cvt_f32_f16_e32 v25, v4
	s_delay_alu instid0(VALU_DEP_2) | instskip(SKIP_1) | instid1(VALU_DEP_3)
	v_mul_f32_e32 v30, v22, v21
	v_mul_f32_e32 v21, v22, v23
	;; [unrolled: 1-line block ×8, first 2 shown]
	v_fma_mixlo_f16 v24, v23, v16, 0
	v_fma_mixlo_f16 v23, v25, v15, 0
	;; [unrolled: 1-line block ×4, first 2 shown]
	s_delay_alu instid0(VALU_DEP_4) | instskip(NEXT) | instid1(VALU_DEP_4)
	v_fma_mixhi_f16 v24, v28, v20, 0
	v_fma_mixhi_f16 v23, v27, v19, 0
	s_delay_alu instid0(VALU_DEP_4) | instskip(NEXT) | instid1(VALU_DEP_4)
	v_fma_mixhi_f16 v22, v31, v18, 0
	v_fma_mixhi_f16 v21, v30, v17, 0
	buffer_store_b128 v[21:24], v10, s[4:7], 0 offen
	;;#ASMSTART
	s_nop 0
	;;#ASMEND
.LBB5_9:                                ;   in Loop: Header=BB5_3 Depth=1
	s_and_b32 vcc_lo, exec_lo, s21
	s_cbranch_vccz .LBB5_2
; %bb.10:                               ;   in Loop: Header=BB5_3 Depth=1
	s_waitcnt vmcnt(0)
	v_dual_mov_b32 v8, v4 :: v_dual_mov_b32 v7, v3
	v_dual_mov_b32 v6, v2 :: v_dual_mov_b32 v5, v1
	s_branch .LBB5_2
.LBB5_11:
	s_nop 0
	s_sendmsg sendmsg(MSG_DEALLOC_VGPRS)
	s_endpgm
	.section	.rodata,"a",@progbits
	.p2align	6, 0x0
	.amdhsa_kernel _ZN5aiter23fused_qk_rmsnorm_kernelIDF16_Li128ELi8ELb1ELi4EEEvPT_S2_PKS1_S4_S4_S4_ffiiiiiii
		.amdhsa_group_segment_fixed_size 16
		.amdhsa_private_segment_fixed_size 0
		.amdhsa_kernarg_size 84
		.amdhsa_user_sgpr_count 14
		.amdhsa_user_sgpr_dispatch_ptr 0
		.amdhsa_user_sgpr_queue_ptr 0
		.amdhsa_user_sgpr_kernarg_segment_ptr 1
		.amdhsa_user_sgpr_dispatch_id 0
		.amdhsa_user_sgpr_private_segment_size 0
		.amdhsa_wavefront_size32 1
		.amdhsa_uses_dynamic_stack 0
		.amdhsa_enable_private_segment 0
		.amdhsa_system_sgpr_workgroup_id_x 1
		.amdhsa_system_sgpr_workgroup_id_y 1
		.amdhsa_system_sgpr_workgroup_id_z 0
		.amdhsa_system_sgpr_workgroup_info 0
		.amdhsa_system_vgpr_workitem_id 0
		.amdhsa_next_free_vgpr 32
		.amdhsa_next_free_sgpr 32
		.amdhsa_reserve_vcc 1
		.amdhsa_float_round_mode_32 0
		.amdhsa_float_round_mode_16_64 0
		.amdhsa_float_denorm_mode_32 3
		.amdhsa_float_denorm_mode_16_64 3
		.amdhsa_dx10_clamp 1
		.amdhsa_ieee_mode 1
		.amdhsa_fp16_overflow 0
		.amdhsa_workgroup_processor_mode 1
		.amdhsa_memory_ordered 1
		.amdhsa_forward_progress 0
		.amdhsa_shared_vgpr_count 0
		.amdhsa_exception_fp_ieee_invalid_op 0
		.amdhsa_exception_fp_denorm_src 0
		.amdhsa_exception_fp_ieee_div_zero 0
		.amdhsa_exception_fp_ieee_overflow 0
		.amdhsa_exception_fp_ieee_underflow 0
		.amdhsa_exception_fp_ieee_inexact 0
		.amdhsa_exception_int_div_zero 0
	.end_amdhsa_kernel
	.section	.text._ZN5aiter23fused_qk_rmsnorm_kernelIDF16_Li128ELi8ELb1ELi4EEEvPT_S2_PKS1_S4_S4_S4_ffiiiiiii,"axG",@progbits,_ZN5aiter23fused_qk_rmsnorm_kernelIDF16_Li128ELi8ELb1ELi4EEEvPT_S2_PKS1_S4_S4_S4_ffiiiiiii,comdat
.Lfunc_end5:
	.size	_ZN5aiter23fused_qk_rmsnorm_kernelIDF16_Li128ELi8ELb1ELi4EEEvPT_S2_PKS1_S4_S4_S4_ffiiiiiii, .Lfunc_end5-_ZN5aiter23fused_qk_rmsnorm_kernelIDF16_Li128ELi8ELb1ELi4EEEvPT_S2_PKS1_S4_S4_S4_ffiiiiiii
                                        ; -- End function
	.section	.AMDGPU.csdata,"",@progbits
; Kernel info:
; codeLenInByte = 1288
; NumSgprs: 34
; NumVgprs: 32
; ScratchSize: 0
; MemoryBound: 0
; FloatMode: 240
; IeeeMode: 1
; LDSByteSize: 16 bytes/workgroup (compile time only)
; SGPRBlocks: 4
; VGPRBlocks: 3
; NumSGPRsForWavesPerEU: 34
; NumVGPRsForWavesPerEU: 32
; Occupancy: 16
; WaveLimiterHint : 0
; COMPUTE_PGM_RSRC2:SCRATCH_EN: 0
; COMPUTE_PGM_RSRC2:USER_SGPR: 14
; COMPUTE_PGM_RSRC2:TRAP_HANDLER: 0
; COMPUTE_PGM_RSRC2:TGID_X_EN: 1
; COMPUTE_PGM_RSRC2:TGID_Y_EN: 1
; COMPUTE_PGM_RSRC2:TGID_Z_EN: 0
; COMPUTE_PGM_RSRC2:TIDIG_COMP_CNT: 0
	.section	.text._ZN5aiter23fused_qk_rmsnorm_kernelItLi128ELi8ELb1ELi4EEEvPT_S2_PKS1_S4_S4_S4_ffiiiiiii,"axG",@progbits,_ZN5aiter23fused_qk_rmsnorm_kernelItLi128ELi8ELb1ELi4EEEvPT_S2_PKS1_S4_S4_S4_ffiiiiiii,comdat
	.protected	_ZN5aiter23fused_qk_rmsnorm_kernelItLi128ELi8ELb1ELi4EEEvPT_S2_PKS1_S4_S4_S4_ffiiiiiii ; -- Begin function _ZN5aiter23fused_qk_rmsnorm_kernelItLi128ELi8ELb1ELi4EEEvPT_S2_PKS1_S4_S4_S4_ffiiiiiii
	.globl	_ZN5aiter23fused_qk_rmsnorm_kernelItLi128ELi8ELb1ELi4EEEvPT_S2_PKS1_S4_S4_S4_ffiiiiiii
	.p2align	8
	.type	_ZN5aiter23fused_qk_rmsnorm_kernelItLi128ELi8ELb1ELi4EEEvPT_S2_PKS1_S4_S4_S4_ffiiiiiii,@function
_ZN5aiter23fused_qk_rmsnorm_kernelItLi128ELi8ELb1ELi4EEEvPT_S2_PKS1_S4_S4_S4_ffiiiiiii: ; @_ZN5aiter23fused_qk_rmsnorm_kernelItLi128ELi8ELb1ELi4EEEvPT_S2_PKS1_S4_S4_S4_ffiiiiiii
; %bb.0:
	s_load_b256 s[4:11], s[0:1], 0x30
	s_mov_b32 s2, s15
	s_mov_b32 s15, 0
	s_delay_alu instid0(SALU_CYCLE_1) | instskip(SKIP_3) | instid1(SALU_CYCLE_1)
	s_lshl_b64 s[12:13], s[14:15], 2
	s_waitcnt lgkmcnt(0)
	s_ashr_i32 s17, s6, 31
	s_mov_b32 s16, s6
	v_cmp_ge_i64_e64 s3, s[12:13], s[16:17]
	s_delay_alu instid0(VALU_DEP_1)
	s_and_b32 vcc_lo, exec_lo, s3
	s_cbranch_vccnz .LBB6_11
; %bb.1:
	s_clause 0x2
	s_load_b256 s[20:27], s[0:1], 0x0
	s_load_b128 s[28:31], s[0:1], 0x20
	s_load_b32 s0, s[0:1], 0x50
	s_cmp_eq_u32 s2, 0
	v_dual_mov_b32 v1, s4 :: v_dual_lshlrev_b32 v10, 4, v0
	s_cselect_b32 vcc_lo, -1, 0
	v_and_b32_e32 v11, 31, v0
	s_and_b32 s1, vcc_lo, exec_lo
	s_cselect_b32 s15, s7, s8
	s_cselect_b32 s8, s9, s10
	v_cndmask_b32_e32 v9, s5, v1, vcc_lo
	s_mul_i32 s3, s13, s8
	s_mov_b32 s7, -1
	v_and_b32_e32 v13, 3, v0
	v_lshrrev_b32_e32 v12, 3, v0
	s_delay_alu instid0(VALU_DEP_1)
	v_and_b32_e32 v0, 0x7c, v12
	s_waitcnt lgkmcnt(0)
	s_cselect_b32 s18, s25, s27
	s_cselect_b32 s19, s24, s26
	;; [unrolled: 1-line block ×7, first 2 shown]
	s_ashr_i32 s9, s8, 31
	s_mul_hi_u32 s0, s12, s8
	s_mul_i32 s1, s12, s9
	v_cvt_f32_i32_e32 v12, s15
	s_add_i32 s1, s0, s1
	s_mul_i32 s0, s12, s8
	s_add_i32 s1, s1, s3
	s_delay_alu instid0(SALU_CYCLE_1) | instskip(NEXT) | instid1(SALU_CYCLE_1)
	s_lshl_b64 s[0:1], s[0:1], 1
	s_add_u32 s0, s19, s0
	s_addc_u32 s1, s18, s1
	s_add_i32 s3, s15, 1
	s_and_b32 s1, s1, 0xffff
	s_lshr_b32 s5, s3, 31
	s_ashr_i32 s11, s10, 31
	s_add_i32 s3, s3, s5
	s_and_b32 s5, s2, 0xffff
	s_lshl_b32 s3, s3, 1
	s_delay_alu instid0(SALU_CYCLE_1)
	s_and_b32 s6, s3, -4
	s_mov_b32 s3, s7
	buffer_load_b128 v[5:8], v10, s[4:7], 0 offen
	s_mov_b32 s2, s6
	buffer_load_b128 v[1:4], v10, s[0:3], 0 offen glc slc
	s_mul_hi_u32 s0, s10, s14
	s_mul_i32 s1, s11, s14
	s_mul_i32 s2, s10, s14
	s_add_i32 s3, s0, s1
	v_cmp_eq_u32_e64 s0, 31, v11
	s_lshl_b64 s[2:3], s[2:3], 3
	v_lshlrev_b32_e32 v11, 2, v13
	s_add_u32 s1, s20, s2
	s_addc_u32 s14, s21, s3
	s_lshl_b64 s[2:3], s[10:11], 1
	s_add_u32 s4, s12, 1
	s_addc_u32 s5, s13, 0
	s_mul_hi_u32 s10, s4, s8
	s_mul_i32 s11, s4, s9
	s_mul_i32 s5, s5, s8
	s_add_i32 s10, s10, s11
	s_mul_i32 s4, s4, s8
	s_add_i32 s5, s10, s5
	s_mov_b64 s[10:11], 0
	s_lshl_b64 s[4:5], s[4:5], 1
	s_delay_alu instid0(SALU_CYCLE_1)
	s_add_u32 s15, s19, s4
	s_addc_u32 s18, s18, s5
	s_lshl_b64 s[8:9], s[8:9], 1
	s_mov_b32 s19, 0x76543210
	s_waitcnt vmcnt(1)
	v_lshrrev_b32_e32 v13, 16, v5
	v_and_b32_e32 v5, 0xffff, v5
	v_lshrrev_b32_e32 v15, 16, v6
	v_and_b32_e32 v6, 0xffff, v6
	;; [unrolled: 2-line block ×4, first 2 shown]
	v_cvt_f32_u32_e32 v13, v13
	v_cvt_f32_u32_e32 v14, v5
	;; [unrolled: 1-line block ×8, first 2 shown]
	s_branch .LBB6_3
.LBB6_2:                                ;   in Loop: Header=BB6_3 Depth=1
	s_cmp_eq_u32 s10, 3
	s_waitcnt vmcnt(0)
	s_delay_alu instid0(VALU_DEP_1)
	v_dual_mov_b32 v1, v5 :: v_dual_mov_b32 v2, v6
	s_cselect_b32 s4, -1, 0
	v_dual_mov_b32 v3, v7 :: v_dual_mov_b32 v4, v8
	s_or_b32 s4, s20, s4
	s_add_u32 s10, s10, 1
	s_addc_u32 s11, s11, 0
	s_add_u32 s1, s1, s2
	s_addc_u32 s14, s14, s3
	;; [unrolled: 2-line block ×3, first 2 shown]
	s_and_not1_b32 vcc_lo, exec_lo, s4
	s_cbranch_vccz .LBB6_11
.LBB6_3:                                ; =>This Inner Loop Header: Depth=1
	s_add_u32 s4, s12, s10
	s_addc_u32 s5, s13, s11
                                        ; implicit-def: $vgpr5_vgpr6_vgpr7_vgpr8
	s_delay_alu instid0(SALU_CYCLE_1) | instskip(SKIP_1) | instid1(VALU_DEP_2)
	v_cmp_lt_i64_e64 s21, s[4:5], s[16:17]
	v_cmp_ge_i64_e64 s20, s[4:5], s[16:17]
	s_and_b32 vcc_lo, exec_lo, s21
	s_mov_b32 s21, -1
	s_cbranch_vccz .LBB6_9
; %bb.4:                                ;   in Loop: Header=BB6_3 Depth=1
	s_cmp_lg_u32 s10, 3
	s_waitcnt vmcnt(0)
	v_dual_mov_b32 v8, v4 :: v_dual_mov_b32 v7, v3
	s_cselect_b32 s21, -1, 0
	s_add_u32 s4, s4, 1
	s_addc_u32 s5, s5, 0
	v_dual_mov_b32 v6, v2 :: v_dual_mov_b32 v5, v1
	v_cmp_lt_i64_e64 s4, s[4:5], s[16:17]
	s_delay_alu instid0(VALU_DEP_1) | instskip(NEXT) | instid1(SALU_CYCLE_1)
	s_and_b32 s4, s21, s4
	s_and_not1_b32 vcc_lo, exec_lo, s4
	s_cbranch_vccnz .LBB6_6
; %bb.5:                                ;   in Loop: Header=BB6_3 Depth=1
	s_and_b32 s5, s18, 0xffff
	s_mov_b32 s4, s15
	buffer_load_b128 v[5:8], v10, s[4:7], 0 offen glc slc
.LBB6_6:                                ;   in Loop: Header=BB6_3 Depth=1
	v_and_b32_e32 v21, 0xffff0000, v1
	v_and_b32_e32 v27, 0xffff0000, v2
	;; [unrolled: 1-line block ×4, first 2 shown]
	v_lshlrev_b32_e32 v26, 16, v2
	v_lshlrev_b32_e32 v22, 16, v1
	v_dual_mul_f32 v29, v21, v21 :: v_dual_lshlrev_b32 v28, 16, v3
	s_delay_alu instid0(VALU_DEP_1) | instskip(NEXT) | instid1(VALU_DEP_1)
	v_dual_fmac_f32 v29, v22, v22 :: v_dual_lshlrev_b32 v24, 16, v4
	v_fmac_f32_e32 v29, v26, v26
	s_delay_alu instid0(VALU_DEP_1) | instskip(NEXT) | instid1(VALU_DEP_1)
	v_fmac_f32_e32 v29, v27, v27
	v_fmac_f32_e32 v29, v28, v28
	s_delay_alu instid0(VALU_DEP_1) | instskip(NEXT) | instid1(VALU_DEP_1)
	v_fmac_f32_e32 v29, v23, v23
	;; [unrolled: 3-line block ×3, first 2 shown]
	v_mov_b32_dpp v30, v29 quad_perm:[1,0,3,2] row_mask:0xf bank_mask:0xf
	s_delay_alu instid0(VALU_DEP_1) | instskip(NEXT) | instid1(VALU_DEP_1)
	v_add_f32_e32 v29, v29, v30
	v_mov_b32_dpp v30, v29 quad_perm:[2,3,0,1] row_mask:0xf bank_mask:0xf
	s_delay_alu instid0(VALU_DEP_1) | instskip(NEXT) | instid1(VALU_DEP_1)
	v_add_f32_e32 v29, v29, v30
	v_mov_b32_dpp v30, v29 row_xmask:7 row_mask:0xf bank_mask:0xf
	s_delay_alu instid0(VALU_DEP_1) | instskip(NEXT) | instid1(VALU_DEP_1)
	v_add_f32_e32 v29, v29, v30
	v_mov_b32_dpp v30, v29 row_xmask:15 row_mask:0xf bank_mask:0xf
	s_and_saveexec_b32 s4, s0
	s_cbranch_execz .LBB6_8
; %bb.7:                                ;   in Loop: Header=BB6_3 Depth=1
	s_delay_alu instid0(VALU_DEP_1) | instskip(NEXT) | instid1(VALU_DEP_1)
	v_add_f32_e32 v29, v29, v30
	v_permlanex16_b32 v30, v29, s19, 0xfedcba98 op_sel:[1,1]
	s_delay_alu instid0(VALU_DEP_1)
	v_add_f32_e32 v29, v29, v30
	ds_store_b32 v0, v29
.LBB6_8:                                ;   in Loop: Header=BB6_3 Depth=1
	s_or_b32 exec_lo, exec_lo, s4
	s_waitcnt vmcnt(0) lgkmcnt(0)
	s_waitcnt_vscnt null, 0x0
	s_barrier
	buffer_gl0_inv
	ds_load_b32 v29, v11
	s_and_b32 s5, s14, 0xffff
	s_mov_b32 s4, s1
	s_mov_b32 s21, 0
	s_waitcnt lgkmcnt(0)
	v_mov_b32_dpp v30, v29 quad_perm:[1,0,3,2] row_mask:0xf bank_mask:0xf
	s_delay_alu instid0(VALU_DEP_1) | instskip(NEXT) | instid1(VALU_DEP_1)
	v_add_f32_e32 v29, v29, v30
	v_mov_b32_dpp v30, v29 quad_perm:[2,3,0,1] row_mask:0xf bank_mask:0xf
	s_delay_alu instid0(VALU_DEP_1) | instskip(NEXT) | instid1(VALU_DEP_1)
	v_add_f32_e32 v29, v29, v30
	v_div_scale_f32 v30, null, v12, v12, v29
	v_div_scale_f32 v33, vcc_lo, v29, v12, v29
	s_delay_alu instid0(VALU_DEP_2) | instskip(SKIP_2) | instid1(VALU_DEP_1)
	v_rcp_f32_e32 v31, v30
	s_waitcnt_depctr 0xfff
	v_fma_f32 v32, -v30, v31, 1.0
	v_fmac_f32_e32 v31, v32, v31
	s_delay_alu instid0(VALU_DEP_1) | instskip(NEXT) | instid1(VALU_DEP_1)
	v_mul_f32_e32 v32, v33, v31
	v_fma_f32 v34, -v30, v32, v33
	s_delay_alu instid0(VALU_DEP_1) | instskip(NEXT) | instid1(VALU_DEP_1)
	v_fmac_f32_e32 v32, v34, v31
	v_fma_f32 v30, -v30, v32, v33
	s_delay_alu instid0(VALU_DEP_1) | instskip(NEXT) | instid1(VALU_DEP_1)
	v_div_fmas_f32 v30, v30, v31, v32
	v_div_fixup_f32 v29, v30, v12, v29
	s_delay_alu instid0(VALU_DEP_1) | instskip(NEXT) | instid1(VALU_DEP_1)
	v_add_f32_e32 v29, v9, v29
	v_mul_f32_e32 v30, 0x4b800000, v29
	v_cmp_gt_f32_e32 vcc_lo, 0x800000, v29
	s_delay_alu instid0(VALU_DEP_2) | instskip(NEXT) | instid1(VALU_DEP_1)
	v_cndmask_b32_e32 v29, v29, v30, vcc_lo
	v_rsq_f32_e32 v29, v29
	s_waitcnt_depctr 0xfff
	v_mul_f32_e32 v30, 0x45800000, v29
	s_delay_alu instid0(VALU_DEP_1) | instskip(NEXT) | instid1(VALU_DEP_1)
	v_cndmask_b32_e32 v29, v29, v30, vcc_lo
	v_mul_f32_e32 v27, v29, v27
	v_mul_f32_e32 v28, v29, v28
	;; [unrolled: 1-line block ×11, first 2 shown]
	v_dual_mul_f32 v24, v24, v20 :: v_dual_mul_f32 v25, v25, v19
	v_dual_mul_f32 v27, v27, v15 :: v_dual_mul_f32 v26, v28, v18
	v_mul_f32_e32 v21, v21, v13
	s_delay_alu instid0(VALU_DEP_3) | instskip(NEXT) | instid1(VALU_DEP_3)
	v_perm_b32 v24, v25, v24, 0x7060302
	v_perm_b32 v22, v27, v22, 0x7060302
	s_delay_alu instid0(VALU_DEP_4) | instskip(NEXT) | instid1(VALU_DEP_4)
	v_perm_b32 v23, v23, v26, 0x7060302
	v_perm_b32 v21, v21, v29, 0x7060302
	buffer_store_b128 v[21:24], v10, s[4:7], 0 offen
	;;#ASMSTART
	s_nop 0
	;;#ASMEND
.LBB6_9:                                ;   in Loop: Header=BB6_3 Depth=1
	s_and_b32 vcc_lo, exec_lo, s21
	s_cbranch_vccz .LBB6_2
; %bb.10:                               ;   in Loop: Header=BB6_3 Depth=1
	s_waitcnt vmcnt(0)
	v_dual_mov_b32 v8, v4 :: v_dual_mov_b32 v7, v3
	v_dual_mov_b32 v6, v2 :: v_dual_mov_b32 v5, v1
	s_branch .LBB6_2
.LBB6_11:
	s_nop 0
	s_sendmsg sendmsg(MSG_DEALLOC_VGPRS)
	s_endpgm
	.section	.rodata,"a",@progbits
	.p2align	6, 0x0
	.amdhsa_kernel _ZN5aiter23fused_qk_rmsnorm_kernelItLi128ELi8ELb1ELi4EEEvPT_S2_PKS1_S4_S4_S4_ffiiiiiii
		.amdhsa_group_segment_fixed_size 16
		.amdhsa_private_segment_fixed_size 0
		.amdhsa_kernarg_size 84
		.amdhsa_user_sgpr_count 14
		.amdhsa_user_sgpr_dispatch_ptr 0
		.amdhsa_user_sgpr_queue_ptr 0
		.amdhsa_user_sgpr_kernarg_segment_ptr 1
		.amdhsa_user_sgpr_dispatch_id 0
		.amdhsa_user_sgpr_private_segment_size 0
		.amdhsa_wavefront_size32 1
		.amdhsa_uses_dynamic_stack 0
		.amdhsa_enable_private_segment 0
		.amdhsa_system_sgpr_workgroup_id_x 1
		.amdhsa_system_sgpr_workgroup_id_y 1
		.amdhsa_system_sgpr_workgroup_id_z 0
		.amdhsa_system_sgpr_workgroup_info 0
		.amdhsa_system_vgpr_workitem_id 0
		.amdhsa_next_free_vgpr 35
		.amdhsa_next_free_sgpr 32
		.amdhsa_reserve_vcc 1
		.amdhsa_float_round_mode_32 0
		.amdhsa_float_round_mode_16_64 0
		.amdhsa_float_denorm_mode_32 3
		.amdhsa_float_denorm_mode_16_64 3
		.amdhsa_dx10_clamp 1
		.amdhsa_ieee_mode 1
		.amdhsa_fp16_overflow 0
		.amdhsa_workgroup_processor_mode 1
		.amdhsa_memory_ordered 1
		.amdhsa_forward_progress 0
		.amdhsa_shared_vgpr_count 0
		.amdhsa_exception_fp_ieee_invalid_op 0
		.amdhsa_exception_fp_denorm_src 0
		.amdhsa_exception_fp_ieee_div_zero 0
		.amdhsa_exception_fp_ieee_overflow 0
		.amdhsa_exception_fp_ieee_underflow 0
		.amdhsa_exception_fp_ieee_inexact 0
		.amdhsa_exception_int_div_zero 0
	.end_amdhsa_kernel
	.section	.text._ZN5aiter23fused_qk_rmsnorm_kernelItLi128ELi8ELb1ELi4EEEvPT_S2_PKS1_S4_S4_S4_ffiiiiiii,"axG",@progbits,_ZN5aiter23fused_qk_rmsnorm_kernelItLi128ELi8ELb1ELi4EEEvPT_S2_PKS1_S4_S4_S4_ffiiiiiii,comdat
.Lfunc_end6:
	.size	_ZN5aiter23fused_qk_rmsnorm_kernelItLi128ELi8ELb1ELi4EEEvPT_S2_PKS1_S4_S4_S4_ffiiiiiii, .Lfunc_end6-_ZN5aiter23fused_qk_rmsnorm_kernelItLi128ELi8ELb1ELi4EEEvPT_S2_PKS1_S4_S4_S4_ffiiiiiii
                                        ; -- End function
	.section	.AMDGPU.csdata,"",@progbits
; Kernel info:
; codeLenInByte = 1296
; NumSgprs: 34
; NumVgprs: 35
; ScratchSize: 0
; MemoryBound: 0
; FloatMode: 240
; IeeeMode: 1
; LDSByteSize: 16 bytes/workgroup (compile time only)
; SGPRBlocks: 4
; VGPRBlocks: 4
; NumSGPRsForWavesPerEU: 34
; NumVGPRsForWavesPerEU: 35
; Occupancy: 16
; WaveLimiterHint : 0
; COMPUTE_PGM_RSRC2:SCRATCH_EN: 0
; COMPUTE_PGM_RSRC2:USER_SGPR: 14
; COMPUTE_PGM_RSRC2:TRAP_HANDLER: 0
; COMPUTE_PGM_RSRC2:TGID_X_EN: 1
; COMPUTE_PGM_RSRC2:TGID_Y_EN: 1
; COMPUTE_PGM_RSRC2:TGID_Z_EN: 0
; COMPUTE_PGM_RSRC2:TIDIG_COMP_CNT: 0
	.section	.text._ZN5aiter23fused_qk_rmsnorm_kernelIDF16_Li128ELi8ELb1ELi1EEEvPT_S2_PKS1_S4_S4_S4_ffiiiiiii,"axG",@progbits,_ZN5aiter23fused_qk_rmsnorm_kernelIDF16_Li128ELi8ELb1ELi1EEEvPT_S2_PKS1_S4_S4_S4_ffiiiiiii,comdat
	.protected	_ZN5aiter23fused_qk_rmsnorm_kernelIDF16_Li128ELi8ELb1ELi1EEEvPT_S2_PKS1_S4_S4_S4_ffiiiiiii ; -- Begin function _ZN5aiter23fused_qk_rmsnorm_kernelIDF16_Li128ELi8ELb1ELi1EEEvPT_S2_PKS1_S4_S4_S4_ffiiiiiii
	.globl	_ZN5aiter23fused_qk_rmsnorm_kernelIDF16_Li128ELi8ELb1ELi1EEEvPT_S2_PKS1_S4_S4_S4_ffiiiiiii
	.p2align	8
	.type	_ZN5aiter23fused_qk_rmsnorm_kernelIDF16_Li128ELi8ELb1ELi1EEEvPT_S2_PKS1_S4_S4_S4_ffiiiiiii,@function
_ZN5aiter23fused_qk_rmsnorm_kernelIDF16_Li128ELi8ELb1ELi1EEEvPT_S2_PKS1_S4_S4_S4_ffiiiiiii: ; @_ZN5aiter23fused_qk_rmsnorm_kernelIDF16_Li128ELi8ELb1ELi1EEEvPT_S2_PKS1_S4_S4_S4_ffiiiiiii
; %bb.0:
	s_load_b256 s[4:11], s[0:1], 0x30
	s_mov_b32 s2, s15
	s_mov_b32 s15, 0
	s_waitcnt lgkmcnt(0)
	s_ashr_i32 s13, s6, 31
	s_mov_b32 s12, s6
	s_delay_alu instid0(SALU_CYCLE_1) | instskip(NEXT) | instid1(VALU_DEP_1)
	v_cmp_ge_i64_e64 s3, s[14:15], s[12:13]
	s_and_b32 vcc_lo, exec_lo, s3
	s_cbranch_vccnz .LBB7_4
; %bb.1:
	s_clause 0x1
	s_load_b256 s[16:23], s[0:1], 0x0
	s_load_b128 s[24:27], s[0:1], 0x20
	s_cmp_eq_u32 s2, 0
	s_load_b32 s0, s[0:1], 0x50
	s_cselect_b32 s2, -1, 0
	v_lshlrev_b32_e32 v5, 4, v0
	s_and_b32 s1, s2, exec_lo
	s_cselect_b32 s3, s9, s10
	s_cselect_b32 s1, s7, s8
	s_mul_hi_u32 s7, s3, s14
	v_and_b32_e32 v16, 31, v0
	s_waitcnt lgkmcnt(0)
	s_cselect_b32 s8, s21, s23
	s_cselect_b32 s9, s20, s22
	;; [unrolled: 1-line block ×4, first 2 shown]
	s_ashr_i32 s6, s3, 31
	s_mov_b32 s23, -1
	s_mul_i32 s12, s6, s14
	s_mul_i32 s6, s3, s14
	s_add_i32 s7, s7, s12
	s_mov_b32 s27, s23
	s_lshl_b64 s[6:7], s[6:7], 1
	s_delay_alu instid0(SALU_CYCLE_1)
	s_add_u32 s24, s9, s6
	s_addc_u32 s3, s8, s7
	s_add_i32 s6, s1, 1
	s_and_b32 s25, s3, 0xffff
	s_lshr_b32 s7, s6, 31
	s_and_b32 s21, s10, 0xffff
	s_add_i32 s6, s6, s7
	s_mov_b32 s3, exec_lo
	s_lshl_b32 s6, s6, 1
	s_delay_alu instid0(SALU_CYCLE_1) | instskip(NEXT) | instid1(SALU_CYCLE_1)
	s_and_b32 s22, s6, -4
	s_mov_b32 s26, s22
	buffer_load_b128 v[7:10], v5, s[24:27], 0 offen glc slc
	s_waitcnt vmcnt(0)
	v_lshrrev_b32_e32 v6, 16, v7
	v_lshrrev_b32_e32 v15, 16, v8
	;; [unrolled: 1-line block ×3, first 2 shown]
	s_delay_alu instid0(VALU_DEP_3) | instskip(NEXT) | instid1(VALU_DEP_1)
	v_cvt_f32_f16_e32 v6, v6
	v_mul_f32_e32 v11, v6, v6
	s_delay_alu instid0(VALU_DEP_1) | instskip(NEXT) | instid1(VALU_DEP_1)
	v_fma_mix_f32 v11, v7, v7, v11 op_sel_hi:[1,1,0]
	v_fma_mix_f32 v11, v8, v8, v11 op_sel_hi:[1,1,0]
	s_delay_alu instid0(VALU_DEP_1) | instskip(NEXT) | instid1(VALU_DEP_1)
	v_fma_mix_f32 v11, v8, v8, v11 op_sel:[1,1,0] op_sel_hi:[1,1,0]
	v_fma_mix_f32 v11, v9, v9, v11 op_sel_hi:[1,1,0]
	s_delay_alu instid0(VALU_DEP_1) | instskip(NEXT) | instid1(VALU_DEP_1)
	v_fma_mix_f32 v11, v9, v9, v11 op_sel:[1,1,0] op_sel_hi:[1,1,0]
	;; [unrolled: 3-line block ×3, first 2 shown]
	v_mov_b32_dpp v12, v11 quad_perm:[1,0,3,2] row_mask:0xf bank_mask:0xf
	s_delay_alu instid0(VALU_DEP_1) | instskip(NEXT) | instid1(VALU_DEP_1)
	v_add_f32_e32 v11, v11, v12
	v_mov_b32_dpp v12, v11 quad_perm:[2,3,0,1] row_mask:0xf bank_mask:0xf
	s_delay_alu instid0(VALU_DEP_1)
	v_add_f32_e32 v11, v11, v12
	v_cvt_f32_f16_e32 v12, v7
	v_cvt_f32_f16_e32 v7, v8
	;; [unrolled: 1-line block ×3, first 2 shown]
	v_lshrrev_b32_e32 v9, 16, v9
	v_mov_b32_dpp v13, v11 row_xmask:7 row_mask:0xf bank_mask:0xf
	s_delay_alu instid0(VALU_DEP_2) | instskip(NEXT) | instid1(VALU_DEP_2)
	v_cvt_f32_f16_e32 v9, v9
	v_add_f32_e32 v14, v11, v13
	buffer_load_b128 v[1:4], v5, s[20:23], 0 offen
	v_cvt_f32_f16_e32 v11, v10
	v_cvt_f32_f16_e32 v13, v15
	;; [unrolled: 1-line block ×3, first 2 shown]
	v_mov_b32_dpp v15, v14 row_xmask:15 row_mask:0xf bank_mask:0xf
	v_cmpx_eq_u32_e32 31, v16
	s_cbranch_execz .LBB7_3
; %bb.2:
	v_lshrrev_b32_e32 v16, 3, v0
	s_delay_alu instid0(VALU_DEP_3)
	v_add_f32_e32 v14, v14, v15
	s_mov_b32 s6, 0x76543210
	s_delay_alu instid0(VALU_DEP_1) | instid1(SALU_CYCLE_1)
	v_permlanex16_b32 v15, v14, s6, 0xfedcba98 op_sel:[1,1]
	s_delay_alu instid0(VALU_DEP_1)
	v_dual_add_f32 v14, v14, v15 :: v_dual_and_b32 v15, 0x7c, v16
	ds_store_b32 v15, v14
.LBB7_3:
	s_or_b32 exec_lo, exec_lo, s3
	v_and_b32_e32 v0, 3, v0
	s_waitcnt vmcnt(0) lgkmcnt(0)
	s_barrier
	buffer_gl0_inv
	v_cvt_f32_i32_e32 v15, s1
	v_lshlrev_b32_e32 v0, 2, v0
	s_and_b32 s1, s2, exec_lo
	s_cselect_b32 s0, s11, s0
	s_cselect_b32 s3, s16, s18
	ds_load_b32 v0, v0
	s_waitcnt lgkmcnt(0)
	v_mov_b32_dpp v14, v0 quad_perm:[1,0,3,2] row_mask:0xf bank_mask:0xf
	s_delay_alu instid0(VALU_DEP_1) | instskip(NEXT) | instid1(VALU_DEP_1)
	v_add_f32_e32 v0, v0, v14
	v_mov_b32_dpp v14, v0 quad_perm:[2,3,0,1] row_mask:0xf bank_mask:0xf
	s_delay_alu instid0(VALU_DEP_1) | instskip(NEXT) | instid1(VALU_DEP_1)
	v_add_f32_e32 v0, v0, v14
	v_div_scale_f32 v14, null, v15, v15, v0
	v_div_scale_f32 v18, vcc_lo, v0, v15, v0
	s_delay_alu instid0(VALU_DEP_2) | instskip(SKIP_2) | instid1(VALU_DEP_1)
	v_rcp_f32_e32 v16, v14
	s_waitcnt_depctr 0xfff
	v_fma_f32 v17, -v14, v16, 1.0
	v_fmac_f32_e32 v16, v17, v16
	s_delay_alu instid0(VALU_DEP_1) | instskip(NEXT) | instid1(VALU_DEP_1)
	v_mul_f32_e32 v17, v18, v16
	v_fma_f32 v19, -v14, v17, v18
	s_delay_alu instid0(VALU_DEP_1) | instskip(NEXT) | instid1(VALU_DEP_1)
	v_fmac_f32_e32 v17, v19, v16
	v_fma_f32 v14, -v14, v17, v18
	v_mov_b32_e32 v18, s4
	s_mul_hi_u32 s4, s0, s14
	s_delay_alu instid0(VALU_DEP_2) | instskip(NEXT) | instid1(VALU_DEP_2)
	v_div_fmas_f32 v14, v14, v16, v17
	v_cndmask_b32_e64 v16, s5, v18, s2
	s_cselect_b32 s2, s17, s19
	s_ashr_i32 s1, s0, 31
	s_mul_i32 s0, s0, s14
	v_div_fixup_f32 v0, v14, v15, v0
	s_mul_i32 s1, s1, s14
	s_delay_alu instid0(SALU_CYCLE_1) | instskip(NEXT) | instid1(SALU_CYCLE_1)
	s_add_i32 s1, s4, s1
	s_lshl_b64 s[0:1], s[0:1], 1
	s_delay_alu instid0(VALU_DEP_1) | instskip(SKIP_2) | instid1(SALU_CYCLE_1)
	v_add_f32_e32 v0, v16, v0
	s_add_u32 s20, s3, s0
	s_addc_u32 s0, s2, s1
	s_and_b32 s21, s0, 0xffff
	s_delay_alu instid0(VALU_DEP_1) | instskip(SKIP_1) | instid1(VALU_DEP_2)
	v_mul_f32_e32 v14, 0x4b800000, v0
	v_cmp_gt_f32_e32 vcc_lo, 0x800000, v0
	v_cndmask_b32_e32 v0, v0, v14, vcc_lo
	s_delay_alu instid0(VALU_DEP_1) | instskip(SKIP_2) | instid1(VALU_DEP_1)
	v_rsq_f32_e32 v0, v0
	s_waitcnt_depctr 0xfff
	v_mul_f32_e32 v14, 0x45800000, v0
	v_cndmask_b32_e32 v0, v0, v14, vcc_lo
	s_delay_alu instid0(VALU_DEP_1)
	v_mul_f32_e32 v14, v0, v6
	v_mul_f32_e32 v6, v0, v12
	;; [unrolled: 1-line block ×8, first 2 shown]
	v_fma_mixlo_f16 v9, v11, v4, 0 op_sel_hi:[0,1,0]
	v_fma_mixlo_f16 v8, v8, v3, 0 op_sel_hi:[0,1,0]
	;; [unrolled: 1-line block ×4, first 2 shown]
	s_delay_alu instid0(VALU_DEP_4) | instskip(NEXT) | instid1(VALU_DEP_4)
	v_fma_mixhi_f16 v9, v0, v4, 0 op_sel:[0,1,0] op_sel_hi:[0,1,0]
	v_fma_mixhi_f16 v8, v13, v3, 0 op_sel:[0,1,0] op_sel_hi:[0,1,0]
	s_delay_alu instid0(VALU_DEP_4) | instskip(NEXT) | instid1(VALU_DEP_4)
	v_fma_mixhi_f16 v7, v12, v2, 0 op_sel:[0,1,0] op_sel_hi:[0,1,0]
	v_fma_mixhi_f16 v6, v14, v1, 0 op_sel:[0,1,0] op_sel_hi:[0,1,0]
	buffer_store_b128 v[6:9], v5, s[20:23], 0 offen
	;;#ASMSTART
	s_nop 0
	;;#ASMEND
.LBB7_4:
	s_nop 0
	s_sendmsg sendmsg(MSG_DEALLOC_VGPRS)
	s_endpgm
	.section	.rodata,"a",@progbits
	.p2align	6, 0x0
	.amdhsa_kernel _ZN5aiter23fused_qk_rmsnorm_kernelIDF16_Li128ELi8ELb1ELi1EEEvPT_S2_PKS1_S4_S4_S4_ffiiiiiii
		.amdhsa_group_segment_fixed_size 16
		.amdhsa_private_segment_fixed_size 0
		.amdhsa_kernarg_size 84
		.amdhsa_user_sgpr_count 14
		.amdhsa_user_sgpr_dispatch_ptr 0
		.amdhsa_user_sgpr_queue_ptr 0
		.amdhsa_user_sgpr_kernarg_segment_ptr 1
		.amdhsa_user_sgpr_dispatch_id 0
		.amdhsa_user_sgpr_private_segment_size 0
		.amdhsa_wavefront_size32 1
		.amdhsa_uses_dynamic_stack 0
		.amdhsa_enable_private_segment 0
		.amdhsa_system_sgpr_workgroup_id_x 1
		.amdhsa_system_sgpr_workgroup_id_y 1
		.amdhsa_system_sgpr_workgroup_id_z 0
		.amdhsa_system_sgpr_workgroup_info 0
		.amdhsa_system_vgpr_workitem_id 0
		.amdhsa_next_free_vgpr 20
		.amdhsa_next_free_sgpr 28
		.amdhsa_reserve_vcc 1
		.amdhsa_float_round_mode_32 0
		.amdhsa_float_round_mode_16_64 0
		.amdhsa_float_denorm_mode_32 3
		.amdhsa_float_denorm_mode_16_64 3
		.amdhsa_dx10_clamp 1
		.amdhsa_ieee_mode 1
		.amdhsa_fp16_overflow 0
		.amdhsa_workgroup_processor_mode 1
		.amdhsa_memory_ordered 1
		.amdhsa_forward_progress 0
		.amdhsa_shared_vgpr_count 0
		.amdhsa_exception_fp_ieee_invalid_op 0
		.amdhsa_exception_fp_denorm_src 0
		.amdhsa_exception_fp_ieee_div_zero 0
		.amdhsa_exception_fp_ieee_overflow 0
		.amdhsa_exception_fp_ieee_underflow 0
		.amdhsa_exception_fp_ieee_inexact 0
		.amdhsa_exception_int_div_zero 0
	.end_amdhsa_kernel
	.section	.text._ZN5aiter23fused_qk_rmsnorm_kernelIDF16_Li128ELi8ELb1ELi1EEEvPT_S2_PKS1_S4_S4_S4_ffiiiiiii,"axG",@progbits,_ZN5aiter23fused_qk_rmsnorm_kernelIDF16_Li128ELi8ELb1ELi1EEEvPT_S2_PKS1_S4_S4_S4_ffiiiiiii,comdat
.Lfunc_end7:
	.size	_ZN5aiter23fused_qk_rmsnorm_kernelIDF16_Li128ELi8ELb1ELi1EEEvPT_S2_PKS1_S4_S4_S4_ffiiiiiii, .Lfunc_end7-_ZN5aiter23fused_qk_rmsnorm_kernelIDF16_Li128ELi8ELb1ELi1EEEvPT_S2_PKS1_S4_S4_S4_ffiiiiiii
                                        ; -- End function
	.section	.AMDGPU.csdata,"",@progbits
; Kernel info:
; codeLenInByte = 932
; NumSgprs: 30
; NumVgprs: 20
; ScratchSize: 0
; MemoryBound: 0
; FloatMode: 240
; IeeeMode: 1
; LDSByteSize: 16 bytes/workgroup (compile time only)
; SGPRBlocks: 3
; VGPRBlocks: 2
; NumSGPRsForWavesPerEU: 30
; NumVGPRsForWavesPerEU: 20
; Occupancy: 16
; WaveLimiterHint : 0
; COMPUTE_PGM_RSRC2:SCRATCH_EN: 0
; COMPUTE_PGM_RSRC2:USER_SGPR: 14
; COMPUTE_PGM_RSRC2:TRAP_HANDLER: 0
; COMPUTE_PGM_RSRC2:TGID_X_EN: 1
; COMPUTE_PGM_RSRC2:TGID_Y_EN: 1
; COMPUTE_PGM_RSRC2:TGID_Z_EN: 0
; COMPUTE_PGM_RSRC2:TIDIG_COMP_CNT: 0
	.section	.text._ZN5aiter23fused_qk_rmsnorm_kernelItLi128ELi8ELb1ELi1EEEvPT_S2_PKS1_S4_S4_S4_ffiiiiiii,"axG",@progbits,_ZN5aiter23fused_qk_rmsnorm_kernelItLi128ELi8ELb1ELi1EEEvPT_S2_PKS1_S4_S4_S4_ffiiiiiii,comdat
	.protected	_ZN5aiter23fused_qk_rmsnorm_kernelItLi128ELi8ELb1ELi1EEEvPT_S2_PKS1_S4_S4_S4_ffiiiiiii ; -- Begin function _ZN5aiter23fused_qk_rmsnorm_kernelItLi128ELi8ELb1ELi1EEEvPT_S2_PKS1_S4_S4_S4_ffiiiiiii
	.globl	_ZN5aiter23fused_qk_rmsnorm_kernelItLi128ELi8ELb1ELi1EEEvPT_S2_PKS1_S4_S4_S4_ffiiiiiii
	.p2align	8
	.type	_ZN5aiter23fused_qk_rmsnorm_kernelItLi128ELi8ELb1ELi1EEEvPT_S2_PKS1_S4_S4_S4_ffiiiiiii,@function
_ZN5aiter23fused_qk_rmsnorm_kernelItLi128ELi8ELb1ELi1EEEvPT_S2_PKS1_S4_S4_S4_ffiiiiiii: ; @_ZN5aiter23fused_qk_rmsnorm_kernelItLi128ELi8ELb1ELi1EEEvPT_S2_PKS1_S4_S4_S4_ffiiiiiii
; %bb.0:
	s_load_b256 s[4:11], s[0:1], 0x30
	s_mov_b32 s2, s15
	s_mov_b32 s15, 0
	s_waitcnt lgkmcnt(0)
	s_ashr_i32 s13, s6, 31
	s_mov_b32 s12, s6
	s_delay_alu instid0(SALU_CYCLE_1) | instskip(NEXT) | instid1(VALU_DEP_1)
	v_cmp_ge_i64_e64 s3, s[14:15], s[12:13]
	s_and_b32 vcc_lo, exec_lo, s3
	s_cbranch_vccnz .LBB8_4
; %bb.1:
	s_clause 0x1
	s_load_b256 s[16:23], s[0:1], 0x0
	s_load_b128 s[24:27], s[0:1], 0x20
	s_cmp_eq_u32 s2, 0
	s_load_b32 s0, s[0:1], 0x50
	s_cselect_b32 s2, -1, 0
	v_lshlrev_b32_e32 v5, 4, v0
	s_and_b32 s1, s2, exec_lo
	s_cselect_b32 s3, s9, s10
	s_cselect_b32 s1, s7, s8
	s_mul_hi_u32 s7, s3, s14
	v_and_b32_e32 v16, 31, v0
	s_waitcnt lgkmcnt(0)
	s_cselect_b32 s8, s21, s23
	s_cselect_b32 s9, s20, s22
	;; [unrolled: 1-line block ×4, first 2 shown]
	s_ashr_i32 s6, s3, 31
	s_mov_b32 s23, -1
	s_mul_i32 s12, s6, s14
	s_mul_i32 s6, s3, s14
	s_add_i32 s7, s7, s12
	s_mov_b32 s27, s23
	s_lshl_b64 s[6:7], s[6:7], 1
	s_delay_alu instid0(SALU_CYCLE_1)
	s_add_u32 s24, s9, s6
	s_addc_u32 s3, s8, s7
	s_add_i32 s6, s1, 1
	s_and_b32 s25, s3, 0xffff
	s_lshr_b32 s7, s6, 31
	s_and_b32 s21, s10, 0xffff
	s_add_i32 s6, s6, s7
	s_mov_b32 s3, exec_lo
	s_lshl_b32 s6, s6, 1
	s_delay_alu instid0(SALU_CYCLE_1) | instskip(NEXT) | instid1(SALU_CYCLE_1)
	s_and_b32 s22, s6, -4
	s_mov_b32 s26, s22
	buffer_load_b128 v[10:13], v5, s[24:27], 0 offen glc slc
	s_waitcnt vmcnt(0)
	v_and_b32_e32 v6, 0xffff0000, v10
	v_lshlrev_b32_e32 v8, 16, v11
	v_lshlrev_b32_e32 v7, 16, v10
	;; [unrolled: 1-line block ×3, first 2 shown]
	s_delay_alu instid0(VALU_DEP_4) | instskip(SKIP_4) | instid1(VALU_DEP_1)
	v_dual_mul_f32 v14, v6, v6 :: v_dual_and_b32 v9, 0xffff0000, v11
	buffer_load_b128 v[1:4], v5, s[20:23], 0 offen
	v_and_b32_e32 v11, 0xffff0000, v12
	v_lshlrev_b32_e32 v12, 16, v13
	v_dual_fmac_f32 v14, v7, v7 :: v_dual_and_b32 v13, 0xffff0000, v13
	v_fmac_f32_e32 v14, v8, v8
	s_delay_alu instid0(VALU_DEP_1) | instskip(NEXT) | instid1(VALU_DEP_1)
	v_fmac_f32_e32 v14, v9, v9
	v_fmac_f32_e32 v14, v10, v10
	s_delay_alu instid0(VALU_DEP_1) | instskip(NEXT) | instid1(VALU_DEP_1)
	v_fmac_f32_e32 v14, v11, v11
	;; [unrolled: 3-line block ×3, first 2 shown]
	v_mov_b32_dpp v15, v14 quad_perm:[1,0,3,2] row_mask:0xf bank_mask:0xf
	s_delay_alu instid0(VALU_DEP_1) | instskip(NEXT) | instid1(VALU_DEP_1)
	v_add_f32_e32 v14, v14, v15
	v_mov_b32_dpp v15, v14 quad_perm:[2,3,0,1] row_mask:0xf bank_mask:0xf
	s_delay_alu instid0(VALU_DEP_1) | instskip(NEXT) | instid1(VALU_DEP_1)
	v_add_f32_e32 v14, v14, v15
	v_mov_b32_dpp v15, v14 row_xmask:7 row_mask:0xf bank_mask:0xf
	s_delay_alu instid0(VALU_DEP_1) | instskip(NEXT) | instid1(VALU_DEP_1)
	v_add_f32_e32 v14, v14, v15
	v_mov_b32_dpp v15, v14 row_xmask:15 row_mask:0xf bank_mask:0xf
	v_cmpx_eq_u32_e32 31, v16
	s_cbranch_execz .LBB8_3
; %bb.2:
	v_lshrrev_b32_e32 v16, 3, v0
	s_delay_alu instid0(VALU_DEP_3)
	v_add_f32_e32 v14, v14, v15
	s_mov_b32 s6, 0x76543210
	s_delay_alu instid0(VALU_DEP_1) | instid1(SALU_CYCLE_1)
	v_permlanex16_b32 v15, v14, s6, 0xfedcba98 op_sel:[1,1]
	s_delay_alu instid0(VALU_DEP_1)
	v_dual_add_f32 v14, v14, v15 :: v_dual_and_b32 v15, 0x7c, v16
	ds_store_b32 v15, v14
.LBB8_3:
	s_or_b32 exec_lo, exec_lo, s3
	v_and_b32_e32 v0, 3, v0
	s_waitcnt vmcnt(0) lgkmcnt(0)
	s_barrier
	buffer_gl0_inv
	v_cvt_f32_i32_e32 v15, s1
	v_lshlrev_b32_e32 v0, 2, v0
	s_and_b32 s1, s2, exec_lo
	s_cselect_b32 s0, s11, s0
	s_cselect_b32 s3, s16, s18
	ds_load_b32 v0, v0
	s_waitcnt lgkmcnt(0)
	v_mov_b32_dpp v14, v0 quad_perm:[1,0,3,2] row_mask:0xf bank_mask:0xf
	s_delay_alu instid0(VALU_DEP_1) | instskip(NEXT) | instid1(VALU_DEP_1)
	v_add_f32_e32 v0, v0, v14
	v_mov_b32_dpp v14, v0 quad_perm:[2,3,0,1] row_mask:0xf bank_mask:0xf
	s_delay_alu instid0(VALU_DEP_1) | instskip(NEXT) | instid1(VALU_DEP_1)
	v_add_f32_e32 v0, v0, v14
	v_div_scale_f32 v14, null, v15, v15, v0
	v_div_scale_f32 v18, vcc_lo, v0, v15, v0
	s_delay_alu instid0(VALU_DEP_2) | instskip(SKIP_2) | instid1(VALU_DEP_1)
	v_rcp_f32_e32 v16, v14
	s_waitcnt_depctr 0xfff
	v_fma_f32 v17, -v14, v16, 1.0
	v_fmac_f32_e32 v16, v17, v16
	s_delay_alu instid0(VALU_DEP_1) | instskip(NEXT) | instid1(VALU_DEP_1)
	v_mul_f32_e32 v17, v18, v16
	v_fma_f32 v19, -v14, v17, v18
	s_delay_alu instid0(VALU_DEP_1) | instskip(NEXT) | instid1(VALU_DEP_1)
	v_fmac_f32_e32 v17, v19, v16
	v_fma_f32 v14, -v14, v17, v18
	v_mov_b32_e32 v18, s4
	s_mul_hi_u32 s4, s0, s14
	s_delay_alu instid0(VALU_DEP_2) | instskip(NEXT) | instid1(VALU_DEP_2)
	v_div_fmas_f32 v14, v14, v16, v17
	v_cndmask_b32_e64 v16, s5, v18, s2
	s_cselect_b32 s2, s17, s19
	s_ashr_i32 s1, s0, 31
	s_mul_i32 s0, s0, s14
	v_div_fixup_f32 v0, v14, v15, v0
	s_mul_i32 s1, s1, s14
	v_and_b32_e32 v17, 0xffff, v4
	v_lshrrev_b32_e32 v4, 16, v4
	s_add_i32 s1, s4, s1
	v_add_f32_e32 v0, v16, v0
	s_lshl_b64 s[0:1], s[0:1], 1
	v_cvt_f32_u32_e32 v17, v17
	v_cvt_f32_u32_e32 v4, v4
	s_add_u32 s20, s3, s0
	v_mul_f32_e32 v15, 0x4b800000, v0
	v_cmp_gt_f32_e32 vcc_lo, 0x800000, v0
	s_addc_u32 s0, s2, s1
	s_delay_alu instid0(SALU_CYCLE_1) | instskip(NEXT) | instid1(VALU_DEP_2)
	s_and_b32 s21, s0, 0xffff
	v_cndmask_b32_e32 v0, v0, v15, vcc_lo
	v_and_b32_e32 v15, 0xffff, v3
	v_lshrrev_b32_e32 v3, 16, v3
	s_delay_alu instid0(VALU_DEP_3) | instskip(NEXT) | instid1(VALU_DEP_2)
	v_rsq_f32_e32 v0, v0
	v_cvt_f32_u32_e32 v15, v15
	s_delay_alu instid0(VALU_DEP_2) | instskip(SKIP_2) | instid1(VALU_DEP_1)
	v_cvt_f32_u32_e32 v3, v3
	s_waitcnt_depctr 0xfff
	v_mul_f32_e32 v18, 0x45800000, v0
	v_cndmask_b32_e32 v0, v0, v18, vcc_lo
	v_and_b32_e32 v14, 0xffff, v1
	v_lshrrev_b32_e32 v1, 16, v1
	v_and_b32_e32 v16, 0xffff, v2
	v_lshrrev_b32_e32 v2, 16, v2
	v_mul_f32_e32 v9, v0, v9
	v_mul_f32_e32 v7, v0, v7
	v_cvt_f32_u32_e32 v14, v14
	v_cvt_f32_u32_e32 v1, v1
	;; [unrolled: 1-line block ×4, first 2 shown]
	v_mul_f32_e32 v6, v0, v6
	v_mul_f32_e32 v8, v0, v8
	v_mul_f32_e32 v10, v0, v10
	v_mul_f32_e32 v11, v0, v11
	v_mul_f32_e32 v12, v0, v12
	v_dual_mul_f32 v0, v0, v13 :: v_dual_mul_f32 v7, v7, v14
	v_mul_f32_e32 v8, v8, v16
	v_mul_f32_e32 v10, v10, v15
	s_delay_alu instid0(VALU_DEP_4) | instskip(NEXT) | instid1(VALU_DEP_4)
	v_mul_f32_e32 v12, v12, v17
	v_mul_f32_e32 v0, v0, v4
	v_dual_mul_f32 v4, v11, v3 :: v_dual_mul_f32 v9, v9, v2
	v_mul_f32_e32 v6, v6, v1
	s_delay_alu instid0(VALU_DEP_3) | instskip(NEXT) | instid1(VALU_DEP_3)
	v_perm_b32 v3, v0, v12, 0x7060302
	v_perm_b32 v2, v4, v10, 0x7060302
	s_delay_alu instid0(VALU_DEP_4) | instskip(NEXT) | instid1(VALU_DEP_4)
	v_perm_b32 v1, v9, v8, 0x7060302
	v_perm_b32 v0, v6, v7, 0x7060302
	buffer_store_b128 v[0:3], v5, s[20:23], 0 offen
	;;#ASMSTART
	s_nop 0
	;;#ASMEND
.LBB8_4:
	s_nop 0
	s_sendmsg sendmsg(MSG_DEALLOC_VGPRS)
	s_endpgm
	.section	.rodata,"a",@progbits
	.p2align	6, 0x0
	.amdhsa_kernel _ZN5aiter23fused_qk_rmsnorm_kernelItLi128ELi8ELb1ELi1EEEvPT_S2_PKS1_S4_S4_S4_ffiiiiiii
		.amdhsa_group_segment_fixed_size 16
		.amdhsa_private_segment_fixed_size 0
		.amdhsa_kernarg_size 84
		.amdhsa_user_sgpr_count 14
		.amdhsa_user_sgpr_dispatch_ptr 0
		.amdhsa_user_sgpr_queue_ptr 0
		.amdhsa_user_sgpr_kernarg_segment_ptr 1
		.amdhsa_user_sgpr_dispatch_id 0
		.amdhsa_user_sgpr_private_segment_size 0
		.amdhsa_wavefront_size32 1
		.amdhsa_uses_dynamic_stack 0
		.amdhsa_enable_private_segment 0
		.amdhsa_system_sgpr_workgroup_id_x 1
		.amdhsa_system_sgpr_workgroup_id_y 1
		.amdhsa_system_sgpr_workgroup_id_z 0
		.amdhsa_system_sgpr_workgroup_info 0
		.amdhsa_system_vgpr_workitem_id 0
		.amdhsa_next_free_vgpr 20
		.amdhsa_next_free_sgpr 28
		.amdhsa_reserve_vcc 1
		.amdhsa_float_round_mode_32 0
		.amdhsa_float_round_mode_16_64 0
		.amdhsa_float_denorm_mode_32 3
		.amdhsa_float_denorm_mode_16_64 3
		.amdhsa_dx10_clamp 1
		.amdhsa_ieee_mode 1
		.amdhsa_fp16_overflow 0
		.amdhsa_workgroup_processor_mode 1
		.amdhsa_memory_ordered 1
		.amdhsa_forward_progress 0
		.amdhsa_shared_vgpr_count 0
		.amdhsa_exception_fp_ieee_invalid_op 0
		.amdhsa_exception_fp_denorm_src 0
		.amdhsa_exception_fp_ieee_div_zero 0
		.amdhsa_exception_fp_ieee_overflow 0
		.amdhsa_exception_fp_ieee_underflow 0
		.amdhsa_exception_fp_ieee_inexact 0
		.amdhsa_exception_int_div_zero 0
	.end_amdhsa_kernel
	.section	.text._ZN5aiter23fused_qk_rmsnorm_kernelItLi128ELi8ELb1ELi1EEEvPT_S2_PKS1_S4_S4_S4_ffiiiiiii,"axG",@progbits,_ZN5aiter23fused_qk_rmsnorm_kernelItLi128ELi8ELb1ELi1EEEvPT_S2_PKS1_S4_S4_S4_ffiiiiiii,comdat
.Lfunc_end8:
	.size	_ZN5aiter23fused_qk_rmsnorm_kernelItLi128ELi8ELb1ELi1EEEvPT_S2_PKS1_S4_S4_S4_ffiiiiiii, .Lfunc_end8-_ZN5aiter23fused_qk_rmsnorm_kernelItLi128ELi8ELb1ELi1EEEvPT_S2_PKS1_S4_S4_S4_ffiiiiiii
                                        ; -- End function
	.section	.AMDGPU.csdata,"",@progbits
; Kernel info:
; codeLenInByte = 992
; NumSgprs: 30
; NumVgprs: 20
; ScratchSize: 0
; MemoryBound: 0
; FloatMode: 240
; IeeeMode: 1
; LDSByteSize: 16 bytes/workgroup (compile time only)
; SGPRBlocks: 3
; VGPRBlocks: 2
; NumSGPRsForWavesPerEU: 30
; NumVGPRsForWavesPerEU: 20
; Occupancy: 16
; WaveLimiterHint : 0
; COMPUTE_PGM_RSRC2:SCRATCH_EN: 0
; COMPUTE_PGM_RSRC2:USER_SGPR: 14
; COMPUTE_PGM_RSRC2:TRAP_HANDLER: 0
; COMPUTE_PGM_RSRC2:TGID_X_EN: 1
; COMPUTE_PGM_RSRC2:TGID_Y_EN: 1
; COMPUTE_PGM_RSRC2:TGID_Z_EN: 0
; COMPUTE_PGM_RSRC2:TIDIG_COMP_CNT: 0
	.section	.text._ZN5aiter23fused_qk_rmsnorm_kernelIDF16_Li256ELi8ELb1ELi4EEEvPT_S2_PKS1_S4_S4_S4_ffiiiiiii,"axG",@progbits,_ZN5aiter23fused_qk_rmsnorm_kernelIDF16_Li256ELi8ELb1ELi4EEEvPT_S2_PKS1_S4_S4_S4_ffiiiiiii,comdat
	.protected	_ZN5aiter23fused_qk_rmsnorm_kernelIDF16_Li256ELi8ELb1ELi4EEEvPT_S2_PKS1_S4_S4_S4_ffiiiiiii ; -- Begin function _ZN5aiter23fused_qk_rmsnorm_kernelIDF16_Li256ELi8ELb1ELi4EEEvPT_S2_PKS1_S4_S4_S4_ffiiiiiii
	.globl	_ZN5aiter23fused_qk_rmsnorm_kernelIDF16_Li256ELi8ELb1ELi4EEEvPT_S2_PKS1_S4_S4_S4_ffiiiiiii
	.p2align	8
	.type	_ZN5aiter23fused_qk_rmsnorm_kernelIDF16_Li256ELi8ELb1ELi4EEEvPT_S2_PKS1_S4_S4_S4_ffiiiiiii,@function
_ZN5aiter23fused_qk_rmsnorm_kernelIDF16_Li256ELi8ELb1ELi4EEEvPT_S2_PKS1_S4_S4_S4_ffiiiiiii: ; @_ZN5aiter23fused_qk_rmsnorm_kernelIDF16_Li256ELi8ELb1ELi4EEEvPT_S2_PKS1_S4_S4_S4_ffiiiiiii
; %bb.0:
	s_load_b256 s[4:11], s[0:1], 0x30
	s_mov_b32 s2, s15
	s_mov_b32 s15, 0
	s_delay_alu instid0(SALU_CYCLE_1) | instskip(SKIP_3) | instid1(SALU_CYCLE_1)
	s_lshl_b64 s[12:13], s[14:15], 2
	s_waitcnt lgkmcnt(0)
	s_ashr_i32 s17, s6, 31
	s_mov_b32 s16, s6
	v_cmp_ge_i64_e64 s3, s[12:13], s[16:17]
	s_delay_alu instid0(VALU_DEP_1)
	s_and_b32 vcc_lo, exec_lo, s3
	s_cbranch_vccnz .LBB9_11
; %bb.1:
	s_clause 0x2
	s_load_b256 s[20:27], s[0:1], 0x0
	s_load_b128 s[28:31], s[0:1], 0x20
	s_load_b32 s0, s[0:1], 0x50
	s_cmp_eq_u32 s2, 0
	v_dual_mov_b32 v1, s4 :: v_dual_lshlrev_b32 v10, 4, v0
	s_cselect_b32 vcc_lo, -1, 0
	v_and_b32_e32 v11, 31, v0
	s_and_b32 s1, vcc_lo, exec_lo
	s_cselect_b32 s15, s7, s8
	s_cselect_b32 s8, s9, s10
	v_cndmask_b32_e32 v9, s5, v1, vcc_lo
	s_mul_i32 s3, s13, s8
	s_mov_b32 s7, -1
	v_and_b32_e32 v13, 7, v0
	v_lshrrev_b32_e32 v12, 3, v0
	s_delay_alu instid0(VALU_DEP_1)
	v_and_b32_e32 v0, 0x7c, v12
	s_waitcnt lgkmcnt(0)
	s_cselect_b32 s18, s25, s27
	s_cselect_b32 s19, s24, s26
	;; [unrolled: 1-line block ×7, first 2 shown]
	s_ashr_i32 s9, s8, 31
	s_mul_hi_u32 s0, s12, s8
	s_mul_i32 s1, s12, s9
	v_cvt_f32_i32_e32 v12, s15
	s_add_i32 s1, s0, s1
	s_mul_i32 s0, s12, s8
	s_add_i32 s1, s1, s3
	s_delay_alu instid0(SALU_CYCLE_1) | instskip(NEXT) | instid1(SALU_CYCLE_1)
	s_lshl_b64 s[0:1], s[0:1], 1
	s_add_u32 s0, s19, s0
	s_addc_u32 s1, s18, s1
	s_add_i32 s3, s15, 1
	s_and_b32 s1, s1, 0xffff
	s_lshr_b32 s5, s3, 31
	s_ashr_i32 s11, s10, 31
	s_add_i32 s3, s3, s5
	s_and_b32 s5, s2, 0xffff
	s_lshl_b32 s3, s3, 1
	s_delay_alu instid0(SALU_CYCLE_1)
	s_and_b32 s6, s3, -4
	s_mov_b32 s3, s7
	buffer_load_b128 v[5:8], v10, s[4:7], 0 offen
	s_mov_b32 s2, s6
	buffer_load_b128 v[1:4], v10, s[0:3], 0 offen glc slc
	s_mul_hi_u32 s0, s10, s14
	s_mul_i32 s1, s11, s14
	s_mul_i32 s2, s10, s14
	s_add_i32 s3, s0, s1
	v_cmp_eq_u32_e64 s0, 31, v11
	s_lshl_b64 s[2:3], s[2:3], 3
	v_lshlrev_b32_e32 v11, 2, v13
	s_add_u32 s1, s20, s2
	s_addc_u32 s14, s21, s3
	s_lshl_b64 s[2:3], s[10:11], 1
	s_add_u32 s4, s12, 1
	s_addc_u32 s5, s13, 0
	s_mul_hi_u32 s10, s4, s8
	s_mul_i32 s11, s4, s9
	s_mul_i32 s5, s5, s8
	s_add_i32 s10, s10, s11
	s_mul_i32 s4, s4, s8
	s_add_i32 s5, s10, s5
	s_mov_b64 s[10:11], 0
	s_lshl_b64 s[4:5], s[4:5], 1
	s_delay_alu instid0(SALU_CYCLE_1)
	s_add_u32 s15, s19, s4
	s_addc_u32 s18, s18, s5
	s_lshl_b64 s[8:9], s[8:9], 1
	s_mov_b32 s19, 0x76543210
	s_waitcnt vmcnt(1)
	v_cvt_f32_f16_e32 v13, v5
	v_lshrrev_b32_e32 v5, 16, v5
	v_cvt_f32_f16_e32 v14, v6
	v_lshrrev_b32_e32 v6, 16, v6
	;; [unrolled: 2-line block ×3, first 2 shown]
	v_lshrrev_b32_e32 v20, 16, v8
	v_cvt_f32_f16_e32 v16, v8
	v_cvt_f32_f16_e32 v17, v5
	;; [unrolled: 1-line block ×5, first 2 shown]
	s_branch .LBB9_3
.LBB9_2:                                ;   in Loop: Header=BB9_3 Depth=1
	s_cmp_eq_u32 s10, 3
	s_waitcnt vmcnt(0)
	s_delay_alu instid0(VALU_DEP_1)
	v_dual_mov_b32 v1, v5 :: v_dual_mov_b32 v2, v6
	s_cselect_b32 s4, -1, 0
	v_dual_mov_b32 v3, v7 :: v_dual_mov_b32 v4, v8
	s_or_b32 s4, s20, s4
	s_add_u32 s10, s10, 1
	s_addc_u32 s11, s11, 0
	s_add_u32 s1, s1, s2
	s_addc_u32 s14, s14, s3
	;; [unrolled: 2-line block ×3, first 2 shown]
	s_and_not1_b32 vcc_lo, exec_lo, s4
	s_cbranch_vccz .LBB9_11
.LBB9_3:                                ; =>This Inner Loop Header: Depth=1
	s_add_u32 s4, s12, s10
	s_addc_u32 s5, s13, s11
                                        ; implicit-def: $vgpr5_vgpr6_vgpr7_vgpr8
	s_delay_alu instid0(SALU_CYCLE_1) | instskip(SKIP_1) | instid1(VALU_DEP_2)
	v_cmp_lt_i64_e64 s21, s[4:5], s[16:17]
	v_cmp_ge_i64_e64 s20, s[4:5], s[16:17]
	s_and_b32 vcc_lo, exec_lo, s21
	s_mov_b32 s21, -1
	s_cbranch_vccz .LBB9_9
; %bb.4:                                ;   in Loop: Header=BB9_3 Depth=1
	s_cmp_lg_u32 s10, 3
	s_waitcnt vmcnt(0)
	v_dual_mov_b32 v8, v4 :: v_dual_mov_b32 v7, v3
	s_cselect_b32 s21, -1, 0
	s_add_u32 s4, s4, 1
	s_addc_u32 s5, s5, 0
	v_dual_mov_b32 v6, v2 :: v_dual_mov_b32 v5, v1
	v_cmp_lt_i64_e64 s4, s[4:5], s[16:17]
	s_delay_alu instid0(VALU_DEP_1) | instskip(NEXT) | instid1(SALU_CYCLE_1)
	s_and_b32 s4, s21, s4
	s_and_not1_b32 vcc_lo, exec_lo, s4
	s_cbranch_vccnz .LBB9_6
; %bb.5:                                ;   in Loop: Header=BB9_3 Depth=1
	s_and_b32 s5, s18, 0xffff
	s_mov_b32 s4, s15
	buffer_load_b128 v[5:8], v10, s[4:7], 0 offen glc slc
.LBB9_6:                                ;   in Loop: Header=BB9_3 Depth=1
	v_lshrrev_b32_e32 v21, 16, v1
	s_delay_alu instid0(VALU_DEP_1) | instskip(NEXT) | instid1(VALU_DEP_1)
	v_cvt_f32_f16_e32 v21, v21
	v_mul_f32_e32 v22, v21, v21
	s_delay_alu instid0(VALU_DEP_1) | instskip(NEXT) | instid1(VALU_DEP_1)
	v_fma_mix_f32 v22, v1, v1, v22 op_sel_hi:[1,1,0]
	v_fma_mix_f32 v22, v2, v2, v22 op_sel_hi:[1,1,0]
	s_delay_alu instid0(VALU_DEP_1) | instskip(NEXT) | instid1(VALU_DEP_1)
	v_fma_mix_f32 v22, v2, v2, v22 op_sel:[1,1,0] op_sel_hi:[1,1,0]
	v_fma_mix_f32 v22, v3, v3, v22 op_sel_hi:[1,1,0]
	s_delay_alu instid0(VALU_DEP_1) | instskip(NEXT) | instid1(VALU_DEP_1)
	v_fma_mix_f32 v22, v3, v3, v22 op_sel:[1,1,0] op_sel_hi:[1,1,0]
	;; [unrolled: 3-line block ×3, first 2 shown]
	v_mov_b32_dpp v23, v22 quad_perm:[1,0,3,2] row_mask:0xf bank_mask:0xf
	s_delay_alu instid0(VALU_DEP_1) | instskip(NEXT) | instid1(VALU_DEP_1)
	v_add_f32_e32 v22, v22, v23
	v_mov_b32_dpp v23, v22 quad_perm:[2,3,0,1] row_mask:0xf bank_mask:0xf
	s_delay_alu instid0(VALU_DEP_1) | instskip(NEXT) | instid1(VALU_DEP_1)
	v_add_f32_e32 v22, v22, v23
	v_mov_b32_dpp v23, v22 row_xmask:7 row_mask:0xf bank_mask:0xf
	s_delay_alu instid0(VALU_DEP_1) | instskip(NEXT) | instid1(VALU_DEP_1)
	v_add_f32_e32 v22, v22, v23
	v_mov_b32_dpp v23, v22 row_xmask:15 row_mask:0xf bank_mask:0xf
	s_and_saveexec_b32 s4, s0
	s_cbranch_execz .LBB9_8
; %bb.7:                                ;   in Loop: Header=BB9_3 Depth=1
	s_delay_alu instid0(VALU_DEP_1) | instskip(NEXT) | instid1(VALU_DEP_1)
	v_add_f32_e32 v22, v22, v23
	v_permlanex16_b32 v23, v22, s19, 0xfedcba98 op_sel:[1,1]
	s_delay_alu instid0(VALU_DEP_1)
	v_add_f32_e32 v22, v22, v23
	ds_store_b32 v0, v22
.LBB9_8:                                ;   in Loop: Header=BB9_3 Depth=1
	s_or_b32 exec_lo, exec_lo, s4
	s_waitcnt vmcnt(0) lgkmcnt(0)
	s_waitcnt_vscnt null, 0x0
	s_barrier
	buffer_gl0_inv
	ds_load_b32 v22, v11
	v_cvt_f32_f16_e32 v28, v3
	v_lshrrev_b32_e32 v29, 16, v4
	s_and_b32 s5, s14, 0xffff
	s_mov_b32 s4, s1
	s_mov_b32 s21, 0
	s_delay_alu instid0(VALU_DEP_1) | instskip(SKIP_2) | instid1(VALU_DEP_1)
	v_cvt_f32_f16_e32 v29, v29
	s_waitcnt lgkmcnt(0)
	v_mov_b32_dpp v23, v22 quad_perm:[1,0,3,2] row_mask:0xf bank_mask:0xf
	v_add_f32_e32 v22, v22, v23
	s_delay_alu instid0(VALU_DEP_1) | instskip(NEXT) | instid1(VALU_DEP_1)
	v_mov_b32_dpp v23, v22 quad_perm:[2,3,0,1] row_mask:0xf bank_mask:0xf
	v_add_f32_e32 v22, v22, v23
	s_delay_alu instid0(VALU_DEP_1) | instskip(NEXT) | instid1(VALU_DEP_1)
	v_mov_b32_dpp v23, v22 row_xmask:7 row_mask:0xf bank_mask:0xf
	v_add_f32_e32 v22, v22, v23
	s_delay_alu instid0(VALU_DEP_1) | instskip(SKIP_1) | instid1(VALU_DEP_2)
	v_div_scale_f32 v23, null, v12, v12, v22
	v_div_scale_f32 v26, vcc_lo, v22, v12, v22
	v_rcp_f32_e32 v24, v23
	s_waitcnt_depctr 0xfff
	v_fma_f32 v25, -v23, v24, 1.0
	s_delay_alu instid0(VALU_DEP_1) | instskip(NEXT) | instid1(VALU_DEP_1)
	v_fmac_f32_e32 v24, v25, v24
	v_mul_f32_e32 v25, v26, v24
	s_delay_alu instid0(VALU_DEP_1) | instskip(NEXT) | instid1(VALU_DEP_1)
	v_fma_f32 v27, -v23, v25, v26
	v_fmac_f32_e32 v25, v27, v24
	v_lshrrev_b32_e32 v27, 16, v3
	s_delay_alu instid0(VALU_DEP_2) | instskip(SKIP_1) | instid1(VALU_DEP_3)
	v_fma_f32 v23, -v23, v25, v26
	v_cvt_f32_f16_e32 v26, v2
	v_cvt_f32_f16_e32 v27, v27
	s_delay_alu instid0(VALU_DEP_3) | instskip(SKIP_1) | instid1(VALU_DEP_2)
	v_div_fmas_f32 v23, v23, v24, v25
	v_lshrrev_b32_e32 v24, 16, v2
	v_div_fixup_f32 v22, v23, v12, v22
	s_delay_alu instid0(VALU_DEP_2) | instskip(NEXT) | instid1(VALU_DEP_2)
	v_cvt_f32_f16_e32 v24, v24
	v_add_f32_e32 v22, v9, v22
	s_delay_alu instid0(VALU_DEP_1) | instskip(SKIP_1) | instid1(VALU_DEP_2)
	v_mul_f32_e32 v23, 0x4b800000, v22
	v_cmp_gt_f32_e32 vcc_lo, 0x800000, v22
	v_cndmask_b32_e32 v22, v22, v23, vcc_lo
	v_cvt_f32_f16_e32 v23, v1
	s_delay_alu instid0(VALU_DEP_2) | instskip(SKIP_2) | instid1(VALU_DEP_1)
	v_rsq_f32_e32 v22, v22
	s_waitcnt_depctr 0xfff
	v_mul_f32_e32 v25, 0x45800000, v22
	v_cndmask_b32_e32 v22, v22, v25, vcc_lo
	v_cvt_f32_f16_e32 v25, v4
	s_delay_alu instid0(VALU_DEP_2) | instskip(SKIP_1) | instid1(VALU_DEP_3)
	v_mul_f32_e32 v30, v22, v21
	v_mul_f32_e32 v21, v22, v23
	;; [unrolled: 1-line block ×8, first 2 shown]
	v_fma_mixlo_f16 v24, v23, v16, 0
	v_fma_mixlo_f16 v23, v25, v15, 0
	;; [unrolled: 1-line block ×4, first 2 shown]
	s_delay_alu instid0(VALU_DEP_4) | instskip(NEXT) | instid1(VALU_DEP_4)
	v_fma_mixhi_f16 v24, v28, v20, 0
	v_fma_mixhi_f16 v23, v27, v19, 0
	s_delay_alu instid0(VALU_DEP_4) | instskip(NEXT) | instid1(VALU_DEP_4)
	v_fma_mixhi_f16 v22, v31, v18, 0
	v_fma_mixhi_f16 v21, v30, v17, 0
	buffer_store_b128 v[21:24], v10, s[4:7], 0 offen
	;;#ASMSTART
	s_nop 0
	;;#ASMEND
.LBB9_9:                                ;   in Loop: Header=BB9_3 Depth=1
	s_and_b32 vcc_lo, exec_lo, s21
	s_cbranch_vccz .LBB9_2
; %bb.10:                               ;   in Loop: Header=BB9_3 Depth=1
	s_waitcnt vmcnt(0)
	v_dual_mov_b32 v8, v4 :: v_dual_mov_b32 v7, v3
	v_dual_mov_b32 v6, v2 :: v_dual_mov_b32 v5, v1
	s_branch .LBB9_2
.LBB9_11:
	s_nop 0
	s_sendmsg sendmsg(MSG_DEALLOC_VGPRS)
	s_endpgm
	.section	.rodata,"a",@progbits
	.p2align	6, 0x0
	.amdhsa_kernel _ZN5aiter23fused_qk_rmsnorm_kernelIDF16_Li256ELi8ELb1ELi4EEEvPT_S2_PKS1_S4_S4_S4_ffiiiiiii
		.amdhsa_group_segment_fixed_size 32
		.amdhsa_private_segment_fixed_size 0
		.amdhsa_kernarg_size 84
		.amdhsa_user_sgpr_count 14
		.amdhsa_user_sgpr_dispatch_ptr 0
		.amdhsa_user_sgpr_queue_ptr 0
		.amdhsa_user_sgpr_kernarg_segment_ptr 1
		.amdhsa_user_sgpr_dispatch_id 0
		.amdhsa_user_sgpr_private_segment_size 0
		.amdhsa_wavefront_size32 1
		.amdhsa_uses_dynamic_stack 0
		.amdhsa_enable_private_segment 0
		.amdhsa_system_sgpr_workgroup_id_x 1
		.amdhsa_system_sgpr_workgroup_id_y 1
		.amdhsa_system_sgpr_workgroup_id_z 0
		.amdhsa_system_sgpr_workgroup_info 0
		.amdhsa_system_vgpr_workitem_id 0
		.amdhsa_next_free_vgpr 32
		.amdhsa_next_free_sgpr 32
		.amdhsa_reserve_vcc 1
		.amdhsa_float_round_mode_32 0
		.amdhsa_float_round_mode_16_64 0
		.amdhsa_float_denorm_mode_32 3
		.amdhsa_float_denorm_mode_16_64 3
		.amdhsa_dx10_clamp 1
		.amdhsa_ieee_mode 1
		.amdhsa_fp16_overflow 0
		.amdhsa_workgroup_processor_mode 1
		.amdhsa_memory_ordered 1
		.amdhsa_forward_progress 0
		.amdhsa_shared_vgpr_count 0
		.amdhsa_exception_fp_ieee_invalid_op 0
		.amdhsa_exception_fp_denorm_src 0
		.amdhsa_exception_fp_ieee_div_zero 0
		.amdhsa_exception_fp_ieee_overflow 0
		.amdhsa_exception_fp_ieee_underflow 0
		.amdhsa_exception_fp_ieee_inexact 0
		.amdhsa_exception_int_div_zero 0
	.end_amdhsa_kernel
	.section	.text._ZN5aiter23fused_qk_rmsnorm_kernelIDF16_Li256ELi8ELb1ELi4EEEvPT_S2_PKS1_S4_S4_S4_ffiiiiiii,"axG",@progbits,_ZN5aiter23fused_qk_rmsnorm_kernelIDF16_Li256ELi8ELb1ELi4EEEvPT_S2_PKS1_S4_S4_S4_ffiiiiiii,comdat
.Lfunc_end9:
	.size	_ZN5aiter23fused_qk_rmsnorm_kernelIDF16_Li256ELi8ELb1ELi4EEEvPT_S2_PKS1_S4_S4_S4_ffiiiiiii, .Lfunc_end9-_ZN5aiter23fused_qk_rmsnorm_kernelIDF16_Li256ELi8ELb1ELi4EEEvPT_S2_PKS1_S4_S4_S4_ffiiiiiii
                                        ; -- End function
	.section	.AMDGPU.csdata,"",@progbits
; Kernel info:
; codeLenInByte = 1304
; NumSgprs: 34
; NumVgprs: 32
; ScratchSize: 0
; MemoryBound: 0
; FloatMode: 240
; IeeeMode: 1
; LDSByteSize: 32 bytes/workgroup (compile time only)
; SGPRBlocks: 4
; VGPRBlocks: 3
; NumSGPRsForWavesPerEU: 34
; NumVGPRsForWavesPerEU: 32
; Occupancy: 16
; WaveLimiterHint : 0
; COMPUTE_PGM_RSRC2:SCRATCH_EN: 0
; COMPUTE_PGM_RSRC2:USER_SGPR: 14
; COMPUTE_PGM_RSRC2:TRAP_HANDLER: 0
; COMPUTE_PGM_RSRC2:TGID_X_EN: 1
; COMPUTE_PGM_RSRC2:TGID_Y_EN: 1
; COMPUTE_PGM_RSRC2:TGID_Z_EN: 0
; COMPUTE_PGM_RSRC2:TIDIG_COMP_CNT: 0
	.section	.text._ZN5aiter23fused_qk_rmsnorm_kernelItLi256ELi8ELb1ELi4EEEvPT_S2_PKS1_S4_S4_S4_ffiiiiiii,"axG",@progbits,_ZN5aiter23fused_qk_rmsnorm_kernelItLi256ELi8ELb1ELi4EEEvPT_S2_PKS1_S4_S4_S4_ffiiiiiii,comdat
	.protected	_ZN5aiter23fused_qk_rmsnorm_kernelItLi256ELi8ELb1ELi4EEEvPT_S2_PKS1_S4_S4_S4_ffiiiiiii ; -- Begin function _ZN5aiter23fused_qk_rmsnorm_kernelItLi256ELi8ELb1ELi4EEEvPT_S2_PKS1_S4_S4_S4_ffiiiiiii
	.globl	_ZN5aiter23fused_qk_rmsnorm_kernelItLi256ELi8ELb1ELi4EEEvPT_S2_PKS1_S4_S4_S4_ffiiiiiii
	.p2align	8
	.type	_ZN5aiter23fused_qk_rmsnorm_kernelItLi256ELi8ELb1ELi4EEEvPT_S2_PKS1_S4_S4_S4_ffiiiiiii,@function
_ZN5aiter23fused_qk_rmsnorm_kernelItLi256ELi8ELb1ELi4EEEvPT_S2_PKS1_S4_S4_S4_ffiiiiiii: ; @_ZN5aiter23fused_qk_rmsnorm_kernelItLi256ELi8ELb1ELi4EEEvPT_S2_PKS1_S4_S4_S4_ffiiiiiii
; %bb.0:
	s_load_b256 s[4:11], s[0:1], 0x30
	s_mov_b32 s2, s15
	s_mov_b32 s15, 0
	s_delay_alu instid0(SALU_CYCLE_1) | instskip(SKIP_3) | instid1(SALU_CYCLE_1)
	s_lshl_b64 s[12:13], s[14:15], 2
	s_waitcnt lgkmcnt(0)
	s_ashr_i32 s17, s6, 31
	s_mov_b32 s16, s6
	v_cmp_ge_i64_e64 s3, s[12:13], s[16:17]
	s_delay_alu instid0(VALU_DEP_1)
	s_and_b32 vcc_lo, exec_lo, s3
	s_cbranch_vccnz .LBB10_11
; %bb.1:
	s_clause 0x2
	s_load_b256 s[20:27], s[0:1], 0x0
	s_load_b128 s[28:31], s[0:1], 0x20
	s_load_b32 s0, s[0:1], 0x50
	s_cmp_eq_u32 s2, 0
	v_dual_mov_b32 v1, s4 :: v_dual_lshlrev_b32 v10, 4, v0
	s_cselect_b32 vcc_lo, -1, 0
	v_and_b32_e32 v11, 31, v0
	s_and_b32 s1, vcc_lo, exec_lo
	s_cselect_b32 s15, s7, s8
	s_cselect_b32 s8, s9, s10
	v_cndmask_b32_e32 v9, s5, v1, vcc_lo
	s_mul_i32 s3, s13, s8
	s_mov_b32 s7, -1
	v_and_b32_e32 v13, 7, v0
	v_lshrrev_b32_e32 v12, 3, v0
	s_delay_alu instid0(VALU_DEP_1)
	v_and_b32_e32 v0, 0x7c, v12
	s_waitcnt lgkmcnt(0)
	s_cselect_b32 s18, s25, s27
	s_cselect_b32 s19, s24, s26
	;; [unrolled: 1-line block ×7, first 2 shown]
	s_ashr_i32 s9, s8, 31
	s_mul_hi_u32 s0, s12, s8
	s_mul_i32 s1, s12, s9
	v_cvt_f32_i32_e32 v12, s15
	s_add_i32 s1, s0, s1
	s_mul_i32 s0, s12, s8
	s_add_i32 s1, s1, s3
	s_delay_alu instid0(SALU_CYCLE_1) | instskip(NEXT) | instid1(SALU_CYCLE_1)
	s_lshl_b64 s[0:1], s[0:1], 1
	s_add_u32 s0, s19, s0
	s_addc_u32 s1, s18, s1
	s_add_i32 s3, s15, 1
	s_and_b32 s1, s1, 0xffff
	s_lshr_b32 s5, s3, 31
	s_ashr_i32 s11, s10, 31
	s_add_i32 s3, s3, s5
	s_and_b32 s5, s2, 0xffff
	s_lshl_b32 s3, s3, 1
	s_delay_alu instid0(SALU_CYCLE_1)
	s_and_b32 s6, s3, -4
	s_mov_b32 s3, s7
	buffer_load_b128 v[5:8], v10, s[4:7], 0 offen
	s_mov_b32 s2, s6
	buffer_load_b128 v[1:4], v10, s[0:3], 0 offen glc slc
	s_mul_hi_u32 s0, s10, s14
	s_mul_i32 s1, s11, s14
	s_mul_i32 s2, s10, s14
	s_add_i32 s3, s0, s1
	v_cmp_eq_u32_e64 s0, 31, v11
	s_lshl_b64 s[2:3], s[2:3], 3
	v_lshlrev_b32_e32 v11, 2, v13
	s_add_u32 s1, s20, s2
	s_addc_u32 s14, s21, s3
	s_lshl_b64 s[2:3], s[10:11], 1
	s_add_u32 s4, s12, 1
	s_addc_u32 s5, s13, 0
	s_mul_hi_u32 s10, s4, s8
	s_mul_i32 s11, s4, s9
	s_mul_i32 s5, s5, s8
	s_add_i32 s10, s10, s11
	s_mul_i32 s4, s4, s8
	s_add_i32 s5, s10, s5
	s_mov_b64 s[10:11], 0
	s_lshl_b64 s[4:5], s[4:5], 1
	s_delay_alu instid0(SALU_CYCLE_1)
	s_add_u32 s15, s19, s4
	s_addc_u32 s18, s18, s5
	s_lshl_b64 s[8:9], s[8:9], 1
	s_mov_b32 s19, 0x76543210
	s_waitcnt vmcnt(1)
	v_lshrrev_b32_e32 v13, 16, v5
	v_and_b32_e32 v5, 0xffff, v5
	v_lshrrev_b32_e32 v15, 16, v6
	v_and_b32_e32 v6, 0xffff, v6
	v_lshrrev_b32_e32 v17, 16, v7
	v_and_b32_e32 v7, 0xffff, v7
	v_lshrrev_b32_e32 v19, 16, v8
	v_and_b32_e32 v8, 0xffff, v8
	v_cvt_f32_u32_e32 v13, v13
	v_cvt_f32_u32_e32 v14, v5
	;; [unrolled: 1-line block ×8, first 2 shown]
	s_branch .LBB10_3
.LBB10_2:                               ;   in Loop: Header=BB10_3 Depth=1
	s_cmp_eq_u32 s10, 3
	s_waitcnt vmcnt(0)
	s_delay_alu instid0(VALU_DEP_1)
	v_dual_mov_b32 v1, v5 :: v_dual_mov_b32 v2, v6
	s_cselect_b32 s4, -1, 0
	v_dual_mov_b32 v3, v7 :: v_dual_mov_b32 v4, v8
	s_or_b32 s4, s20, s4
	s_add_u32 s10, s10, 1
	s_addc_u32 s11, s11, 0
	s_add_u32 s1, s1, s2
	s_addc_u32 s14, s14, s3
	;; [unrolled: 2-line block ×3, first 2 shown]
	s_and_not1_b32 vcc_lo, exec_lo, s4
	s_cbranch_vccz .LBB10_11
.LBB10_3:                               ; =>This Inner Loop Header: Depth=1
	s_add_u32 s4, s12, s10
	s_addc_u32 s5, s13, s11
                                        ; implicit-def: $vgpr5_vgpr6_vgpr7_vgpr8
	s_delay_alu instid0(SALU_CYCLE_1) | instskip(SKIP_1) | instid1(VALU_DEP_2)
	v_cmp_lt_i64_e64 s21, s[4:5], s[16:17]
	v_cmp_ge_i64_e64 s20, s[4:5], s[16:17]
	s_and_b32 vcc_lo, exec_lo, s21
	s_mov_b32 s21, -1
	s_cbranch_vccz .LBB10_9
; %bb.4:                                ;   in Loop: Header=BB10_3 Depth=1
	s_cmp_lg_u32 s10, 3
	s_waitcnt vmcnt(0)
	v_dual_mov_b32 v8, v4 :: v_dual_mov_b32 v7, v3
	s_cselect_b32 s21, -1, 0
	s_add_u32 s4, s4, 1
	s_addc_u32 s5, s5, 0
	v_dual_mov_b32 v6, v2 :: v_dual_mov_b32 v5, v1
	v_cmp_lt_i64_e64 s4, s[4:5], s[16:17]
	s_delay_alu instid0(VALU_DEP_1) | instskip(NEXT) | instid1(SALU_CYCLE_1)
	s_and_b32 s4, s21, s4
	s_and_not1_b32 vcc_lo, exec_lo, s4
	s_cbranch_vccnz .LBB10_6
; %bb.5:                                ;   in Loop: Header=BB10_3 Depth=1
	s_and_b32 s5, s18, 0xffff
	s_mov_b32 s4, s15
	buffer_load_b128 v[5:8], v10, s[4:7], 0 offen glc slc
.LBB10_6:                               ;   in Loop: Header=BB10_3 Depth=1
	v_and_b32_e32 v21, 0xffff0000, v1
	v_and_b32_e32 v27, 0xffff0000, v2
	;; [unrolled: 1-line block ×4, first 2 shown]
	v_lshlrev_b32_e32 v26, 16, v2
	v_lshlrev_b32_e32 v22, 16, v1
	v_dual_mul_f32 v29, v21, v21 :: v_dual_lshlrev_b32 v28, 16, v3
	s_delay_alu instid0(VALU_DEP_1) | instskip(NEXT) | instid1(VALU_DEP_1)
	v_dual_fmac_f32 v29, v22, v22 :: v_dual_lshlrev_b32 v24, 16, v4
	v_fmac_f32_e32 v29, v26, v26
	s_delay_alu instid0(VALU_DEP_1) | instskip(NEXT) | instid1(VALU_DEP_1)
	v_fmac_f32_e32 v29, v27, v27
	v_fmac_f32_e32 v29, v28, v28
	s_delay_alu instid0(VALU_DEP_1) | instskip(NEXT) | instid1(VALU_DEP_1)
	v_fmac_f32_e32 v29, v23, v23
	;; [unrolled: 3-line block ×3, first 2 shown]
	v_mov_b32_dpp v30, v29 quad_perm:[1,0,3,2] row_mask:0xf bank_mask:0xf
	s_delay_alu instid0(VALU_DEP_1) | instskip(NEXT) | instid1(VALU_DEP_1)
	v_add_f32_e32 v29, v29, v30
	v_mov_b32_dpp v30, v29 quad_perm:[2,3,0,1] row_mask:0xf bank_mask:0xf
	s_delay_alu instid0(VALU_DEP_1) | instskip(NEXT) | instid1(VALU_DEP_1)
	v_add_f32_e32 v29, v29, v30
	v_mov_b32_dpp v30, v29 row_xmask:7 row_mask:0xf bank_mask:0xf
	s_delay_alu instid0(VALU_DEP_1) | instskip(NEXT) | instid1(VALU_DEP_1)
	v_add_f32_e32 v29, v29, v30
	v_mov_b32_dpp v30, v29 row_xmask:15 row_mask:0xf bank_mask:0xf
	s_and_saveexec_b32 s4, s0
	s_cbranch_execz .LBB10_8
; %bb.7:                                ;   in Loop: Header=BB10_3 Depth=1
	s_delay_alu instid0(VALU_DEP_1) | instskip(NEXT) | instid1(VALU_DEP_1)
	v_add_f32_e32 v29, v29, v30
	v_permlanex16_b32 v30, v29, s19, 0xfedcba98 op_sel:[1,1]
	s_delay_alu instid0(VALU_DEP_1)
	v_add_f32_e32 v29, v29, v30
	ds_store_b32 v0, v29
.LBB10_8:                               ;   in Loop: Header=BB10_3 Depth=1
	s_or_b32 exec_lo, exec_lo, s4
	s_waitcnt vmcnt(0) lgkmcnt(0)
	s_waitcnt_vscnt null, 0x0
	s_barrier
	buffer_gl0_inv
	ds_load_b32 v29, v11
	s_and_b32 s5, s14, 0xffff
	s_mov_b32 s4, s1
	s_mov_b32 s21, 0
	s_waitcnt lgkmcnt(0)
	v_mov_b32_dpp v30, v29 quad_perm:[1,0,3,2] row_mask:0xf bank_mask:0xf
	s_delay_alu instid0(VALU_DEP_1) | instskip(NEXT) | instid1(VALU_DEP_1)
	v_add_f32_e32 v29, v29, v30
	v_mov_b32_dpp v30, v29 quad_perm:[2,3,0,1] row_mask:0xf bank_mask:0xf
	s_delay_alu instid0(VALU_DEP_1) | instskip(NEXT) | instid1(VALU_DEP_1)
	v_add_f32_e32 v29, v29, v30
	v_mov_b32_dpp v30, v29 row_xmask:7 row_mask:0xf bank_mask:0xf
	s_delay_alu instid0(VALU_DEP_1) | instskip(NEXT) | instid1(VALU_DEP_1)
	v_add_f32_e32 v29, v29, v30
	v_div_scale_f32 v30, null, v12, v12, v29
	v_div_scale_f32 v33, vcc_lo, v29, v12, v29
	s_delay_alu instid0(VALU_DEP_2) | instskip(SKIP_2) | instid1(VALU_DEP_1)
	v_rcp_f32_e32 v31, v30
	s_waitcnt_depctr 0xfff
	v_fma_f32 v32, -v30, v31, 1.0
	v_fmac_f32_e32 v31, v32, v31
	s_delay_alu instid0(VALU_DEP_1) | instskip(NEXT) | instid1(VALU_DEP_1)
	v_mul_f32_e32 v32, v33, v31
	v_fma_f32 v34, -v30, v32, v33
	s_delay_alu instid0(VALU_DEP_1) | instskip(NEXT) | instid1(VALU_DEP_1)
	v_fmac_f32_e32 v32, v34, v31
	v_fma_f32 v30, -v30, v32, v33
	s_delay_alu instid0(VALU_DEP_1) | instskip(NEXT) | instid1(VALU_DEP_1)
	v_div_fmas_f32 v30, v30, v31, v32
	v_div_fixup_f32 v29, v30, v12, v29
	s_delay_alu instid0(VALU_DEP_1) | instskip(NEXT) | instid1(VALU_DEP_1)
	v_add_f32_e32 v29, v9, v29
	v_mul_f32_e32 v30, 0x4b800000, v29
	v_cmp_gt_f32_e32 vcc_lo, 0x800000, v29
	s_delay_alu instid0(VALU_DEP_2) | instskip(NEXT) | instid1(VALU_DEP_1)
	v_cndmask_b32_e32 v29, v29, v30, vcc_lo
	v_rsq_f32_e32 v29, v29
	s_waitcnt_depctr 0xfff
	v_mul_f32_e32 v30, 0x45800000, v29
	s_delay_alu instid0(VALU_DEP_1) | instskip(NEXT) | instid1(VALU_DEP_1)
	v_cndmask_b32_e32 v29, v29, v30, vcc_lo
	v_mul_f32_e32 v27, v29, v27
	v_mul_f32_e32 v28, v29, v28
	;; [unrolled: 1-line block ×11, first 2 shown]
	v_dual_mul_f32 v24, v24, v20 :: v_dual_mul_f32 v25, v25, v19
	v_dual_mul_f32 v27, v27, v15 :: v_dual_mul_f32 v26, v28, v18
	v_mul_f32_e32 v21, v21, v13
	s_delay_alu instid0(VALU_DEP_3) | instskip(NEXT) | instid1(VALU_DEP_3)
	v_perm_b32 v24, v25, v24, 0x7060302
	v_perm_b32 v22, v27, v22, 0x7060302
	s_delay_alu instid0(VALU_DEP_4) | instskip(NEXT) | instid1(VALU_DEP_4)
	v_perm_b32 v23, v23, v26, 0x7060302
	v_perm_b32 v21, v21, v29, 0x7060302
	buffer_store_b128 v[21:24], v10, s[4:7], 0 offen
	;;#ASMSTART
	s_nop 0
	;;#ASMEND
.LBB10_9:                               ;   in Loop: Header=BB10_3 Depth=1
	s_and_b32 vcc_lo, exec_lo, s21
	s_cbranch_vccz .LBB10_2
; %bb.10:                               ;   in Loop: Header=BB10_3 Depth=1
	s_waitcnt vmcnt(0)
	v_dual_mov_b32 v8, v4 :: v_dual_mov_b32 v7, v3
	v_dual_mov_b32 v6, v2 :: v_dual_mov_b32 v5, v1
	s_branch .LBB10_2
.LBB10_11:
	s_nop 0
	s_sendmsg sendmsg(MSG_DEALLOC_VGPRS)
	s_endpgm
	.section	.rodata,"a",@progbits
	.p2align	6, 0x0
	.amdhsa_kernel _ZN5aiter23fused_qk_rmsnorm_kernelItLi256ELi8ELb1ELi4EEEvPT_S2_PKS1_S4_S4_S4_ffiiiiiii
		.amdhsa_group_segment_fixed_size 32
		.amdhsa_private_segment_fixed_size 0
		.amdhsa_kernarg_size 84
		.amdhsa_user_sgpr_count 14
		.amdhsa_user_sgpr_dispatch_ptr 0
		.amdhsa_user_sgpr_queue_ptr 0
		.amdhsa_user_sgpr_kernarg_segment_ptr 1
		.amdhsa_user_sgpr_dispatch_id 0
		.amdhsa_user_sgpr_private_segment_size 0
		.amdhsa_wavefront_size32 1
		.amdhsa_uses_dynamic_stack 0
		.amdhsa_enable_private_segment 0
		.amdhsa_system_sgpr_workgroup_id_x 1
		.amdhsa_system_sgpr_workgroup_id_y 1
		.amdhsa_system_sgpr_workgroup_id_z 0
		.amdhsa_system_sgpr_workgroup_info 0
		.amdhsa_system_vgpr_workitem_id 0
		.amdhsa_next_free_vgpr 35
		.amdhsa_next_free_sgpr 32
		.amdhsa_reserve_vcc 1
		.amdhsa_float_round_mode_32 0
		.amdhsa_float_round_mode_16_64 0
		.amdhsa_float_denorm_mode_32 3
		.amdhsa_float_denorm_mode_16_64 3
		.amdhsa_dx10_clamp 1
		.amdhsa_ieee_mode 1
		.amdhsa_fp16_overflow 0
		.amdhsa_workgroup_processor_mode 1
		.amdhsa_memory_ordered 1
		.amdhsa_forward_progress 0
		.amdhsa_shared_vgpr_count 0
		.amdhsa_exception_fp_ieee_invalid_op 0
		.amdhsa_exception_fp_denorm_src 0
		.amdhsa_exception_fp_ieee_div_zero 0
		.amdhsa_exception_fp_ieee_overflow 0
		.amdhsa_exception_fp_ieee_underflow 0
		.amdhsa_exception_fp_ieee_inexact 0
		.amdhsa_exception_int_div_zero 0
	.end_amdhsa_kernel
	.section	.text._ZN5aiter23fused_qk_rmsnorm_kernelItLi256ELi8ELb1ELi4EEEvPT_S2_PKS1_S4_S4_S4_ffiiiiiii,"axG",@progbits,_ZN5aiter23fused_qk_rmsnorm_kernelItLi256ELi8ELb1ELi4EEEvPT_S2_PKS1_S4_S4_S4_ffiiiiiii,comdat
.Lfunc_end10:
	.size	_ZN5aiter23fused_qk_rmsnorm_kernelItLi256ELi8ELb1ELi4EEEvPT_S2_PKS1_S4_S4_S4_ffiiiiiii, .Lfunc_end10-_ZN5aiter23fused_qk_rmsnorm_kernelItLi256ELi8ELb1ELi4EEEvPT_S2_PKS1_S4_S4_S4_ffiiiiiii
                                        ; -- End function
	.section	.AMDGPU.csdata,"",@progbits
; Kernel info:
; codeLenInByte = 1312
; NumSgprs: 34
; NumVgprs: 35
; ScratchSize: 0
; MemoryBound: 0
; FloatMode: 240
; IeeeMode: 1
; LDSByteSize: 32 bytes/workgroup (compile time only)
; SGPRBlocks: 4
; VGPRBlocks: 4
; NumSGPRsForWavesPerEU: 34
; NumVGPRsForWavesPerEU: 35
; Occupancy: 16
; WaveLimiterHint : 0
; COMPUTE_PGM_RSRC2:SCRATCH_EN: 0
; COMPUTE_PGM_RSRC2:USER_SGPR: 14
; COMPUTE_PGM_RSRC2:TRAP_HANDLER: 0
; COMPUTE_PGM_RSRC2:TGID_X_EN: 1
; COMPUTE_PGM_RSRC2:TGID_Y_EN: 1
; COMPUTE_PGM_RSRC2:TGID_Z_EN: 0
; COMPUTE_PGM_RSRC2:TIDIG_COMP_CNT: 0
	.section	.text._ZN5aiter23fused_qk_rmsnorm_kernelIDF16_Li256ELi8ELb1ELi1EEEvPT_S2_PKS1_S4_S4_S4_ffiiiiiii,"axG",@progbits,_ZN5aiter23fused_qk_rmsnorm_kernelIDF16_Li256ELi8ELb1ELi1EEEvPT_S2_PKS1_S4_S4_S4_ffiiiiiii,comdat
	.protected	_ZN5aiter23fused_qk_rmsnorm_kernelIDF16_Li256ELi8ELb1ELi1EEEvPT_S2_PKS1_S4_S4_S4_ffiiiiiii ; -- Begin function _ZN5aiter23fused_qk_rmsnorm_kernelIDF16_Li256ELi8ELb1ELi1EEEvPT_S2_PKS1_S4_S4_S4_ffiiiiiii
	.globl	_ZN5aiter23fused_qk_rmsnorm_kernelIDF16_Li256ELi8ELb1ELi1EEEvPT_S2_PKS1_S4_S4_S4_ffiiiiiii
	.p2align	8
	.type	_ZN5aiter23fused_qk_rmsnorm_kernelIDF16_Li256ELi8ELb1ELi1EEEvPT_S2_PKS1_S4_S4_S4_ffiiiiiii,@function
_ZN5aiter23fused_qk_rmsnorm_kernelIDF16_Li256ELi8ELb1ELi1EEEvPT_S2_PKS1_S4_S4_S4_ffiiiiiii: ; @_ZN5aiter23fused_qk_rmsnorm_kernelIDF16_Li256ELi8ELb1ELi1EEEvPT_S2_PKS1_S4_S4_S4_ffiiiiiii
; %bb.0:
	s_load_b256 s[4:11], s[0:1], 0x30
	s_mov_b32 s2, s15
	s_mov_b32 s15, 0
	s_waitcnt lgkmcnt(0)
	s_ashr_i32 s13, s6, 31
	s_mov_b32 s12, s6
	s_delay_alu instid0(SALU_CYCLE_1) | instskip(NEXT) | instid1(VALU_DEP_1)
	v_cmp_ge_i64_e64 s3, s[14:15], s[12:13]
	s_and_b32 vcc_lo, exec_lo, s3
	s_cbranch_vccnz .LBB11_4
; %bb.1:
	s_clause 0x1
	s_load_b256 s[16:23], s[0:1], 0x0
	s_load_b128 s[24:27], s[0:1], 0x20
	s_cmp_eq_u32 s2, 0
	s_load_b32 s0, s[0:1], 0x50
	s_cselect_b32 s2, -1, 0
	v_lshlrev_b32_e32 v5, 4, v0
	s_and_b32 s1, s2, exec_lo
	s_cselect_b32 s3, s9, s10
	s_cselect_b32 s1, s7, s8
	s_mul_hi_u32 s7, s3, s14
	v_and_b32_e32 v16, 31, v0
	s_waitcnt lgkmcnt(0)
	s_cselect_b32 s8, s21, s23
	s_cselect_b32 s9, s20, s22
	;; [unrolled: 1-line block ×4, first 2 shown]
	s_ashr_i32 s6, s3, 31
	s_mov_b32 s23, -1
	s_mul_i32 s12, s6, s14
	s_mul_i32 s6, s3, s14
	s_add_i32 s7, s7, s12
	s_mov_b32 s27, s23
	s_lshl_b64 s[6:7], s[6:7], 1
	s_delay_alu instid0(SALU_CYCLE_1)
	s_add_u32 s24, s9, s6
	s_addc_u32 s3, s8, s7
	s_add_i32 s6, s1, 1
	s_and_b32 s25, s3, 0xffff
	s_lshr_b32 s7, s6, 31
	s_and_b32 s21, s10, 0xffff
	s_add_i32 s6, s6, s7
	s_mov_b32 s3, exec_lo
	s_lshl_b32 s6, s6, 1
	s_delay_alu instid0(SALU_CYCLE_1) | instskip(NEXT) | instid1(SALU_CYCLE_1)
	s_and_b32 s22, s6, -4
	s_mov_b32 s26, s22
	buffer_load_b128 v[7:10], v5, s[24:27], 0 offen glc slc
	s_waitcnt vmcnt(0)
	v_lshrrev_b32_e32 v6, 16, v7
	v_lshrrev_b32_e32 v15, 16, v8
	;; [unrolled: 1-line block ×3, first 2 shown]
	s_delay_alu instid0(VALU_DEP_3) | instskip(NEXT) | instid1(VALU_DEP_1)
	v_cvt_f32_f16_e32 v6, v6
	v_mul_f32_e32 v11, v6, v6
	s_delay_alu instid0(VALU_DEP_1) | instskip(NEXT) | instid1(VALU_DEP_1)
	v_fma_mix_f32 v11, v7, v7, v11 op_sel_hi:[1,1,0]
	v_fma_mix_f32 v11, v8, v8, v11 op_sel_hi:[1,1,0]
	s_delay_alu instid0(VALU_DEP_1) | instskip(NEXT) | instid1(VALU_DEP_1)
	v_fma_mix_f32 v11, v8, v8, v11 op_sel:[1,1,0] op_sel_hi:[1,1,0]
	v_fma_mix_f32 v11, v9, v9, v11 op_sel_hi:[1,1,0]
	s_delay_alu instid0(VALU_DEP_1) | instskip(NEXT) | instid1(VALU_DEP_1)
	v_fma_mix_f32 v11, v9, v9, v11 op_sel:[1,1,0] op_sel_hi:[1,1,0]
	;; [unrolled: 3-line block ×3, first 2 shown]
	v_mov_b32_dpp v12, v11 quad_perm:[1,0,3,2] row_mask:0xf bank_mask:0xf
	s_delay_alu instid0(VALU_DEP_1) | instskip(NEXT) | instid1(VALU_DEP_1)
	v_add_f32_e32 v11, v11, v12
	v_mov_b32_dpp v12, v11 quad_perm:[2,3,0,1] row_mask:0xf bank_mask:0xf
	s_delay_alu instid0(VALU_DEP_1)
	v_add_f32_e32 v11, v11, v12
	v_cvt_f32_f16_e32 v12, v7
	v_cvt_f32_f16_e32 v7, v8
	v_cvt_f32_f16_e32 v8, v9
	v_lshrrev_b32_e32 v9, 16, v9
	v_mov_b32_dpp v13, v11 row_xmask:7 row_mask:0xf bank_mask:0xf
	s_delay_alu instid0(VALU_DEP_2) | instskip(NEXT) | instid1(VALU_DEP_2)
	v_cvt_f32_f16_e32 v9, v9
	v_add_f32_e32 v14, v11, v13
	buffer_load_b128 v[1:4], v5, s[20:23], 0 offen
	v_cvt_f32_f16_e32 v11, v10
	v_cvt_f32_f16_e32 v13, v15
	;; [unrolled: 1-line block ×3, first 2 shown]
	v_mov_b32_dpp v15, v14 row_xmask:15 row_mask:0xf bank_mask:0xf
	v_cmpx_eq_u32_e32 31, v16
	s_cbranch_execz .LBB11_3
; %bb.2:
	v_lshrrev_b32_e32 v16, 3, v0
	s_delay_alu instid0(VALU_DEP_3)
	v_add_f32_e32 v14, v14, v15
	s_mov_b32 s6, 0x76543210
	s_delay_alu instid0(VALU_DEP_1) | instid1(SALU_CYCLE_1)
	v_permlanex16_b32 v15, v14, s6, 0xfedcba98 op_sel:[1,1]
	s_delay_alu instid0(VALU_DEP_1)
	v_dual_add_f32 v14, v14, v15 :: v_dual_and_b32 v15, 0x7c, v16
	ds_store_b32 v15, v14
.LBB11_3:
	s_or_b32 exec_lo, exec_lo, s3
	v_and_b32_e32 v0, 7, v0
	s_waitcnt vmcnt(0) lgkmcnt(0)
	s_barrier
	buffer_gl0_inv
	v_cvt_f32_i32_e32 v15, s1
	v_lshlrev_b32_e32 v0, 2, v0
	s_and_b32 s1, s2, exec_lo
	s_cselect_b32 s0, s11, s0
	s_cselect_b32 s3, s16, s18
	ds_load_b32 v0, v0
	s_waitcnt lgkmcnt(0)
	v_mov_b32_dpp v14, v0 quad_perm:[1,0,3,2] row_mask:0xf bank_mask:0xf
	s_delay_alu instid0(VALU_DEP_1) | instskip(NEXT) | instid1(VALU_DEP_1)
	v_add_f32_e32 v0, v0, v14
	v_mov_b32_dpp v14, v0 quad_perm:[2,3,0,1] row_mask:0xf bank_mask:0xf
	s_delay_alu instid0(VALU_DEP_1) | instskip(NEXT) | instid1(VALU_DEP_1)
	v_add_f32_e32 v0, v0, v14
	v_mov_b32_dpp v14, v0 row_xmask:7 row_mask:0xf bank_mask:0xf
	s_delay_alu instid0(VALU_DEP_1) | instskip(NEXT) | instid1(VALU_DEP_1)
	v_add_f32_e32 v0, v0, v14
	v_div_scale_f32 v14, null, v15, v15, v0
	v_div_scale_f32 v18, vcc_lo, v0, v15, v0
	s_delay_alu instid0(VALU_DEP_2) | instskip(SKIP_2) | instid1(VALU_DEP_1)
	v_rcp_f32_e32 v16, v14
	s_waitcnt_depctr 0xfff
	v_fma_f32 v17, -v14, v16, 1.0
	v_fmac_f32_e32 v16, v17, v16
	s_delay_alu instid0(VALU_DEP_1) | instskip(NEXT) | instid1(VALU_DEP_1)
	v_mul_f32_e32 v17, v18, v16
	v_fma_f32 v19, -v14, v17, v18
	s_delay_alu instid0(VALU_DEP_1) | instskip(NEXT) | instid1(VALU_DEP_1)
	v_fmac_f32_e32 v17, v19, v16
	v_fma_f32 v14, -v14, v17, v18
	v_mov_b32_e32 v18, s4
	s_mul_hi_u32 s4, s0, s14
	s_delay_alu instid0(VALU_DEP_2) | instskip(NEXT) | instid1(VALU_DEP_2)
	v_div_fmas_f32 v14, v14, v16, v17
	v_cndmask_b32_e64 v16, s5, v18, s2
	s_cselect_b32 s2, s17, s19
	s_ashr_i32 s1, s0, 31
	s_mul_i32 s0, s0, s14
	v_div_fixup_f32 v0, v14, v15, v0
	s_mul_i32 s1, s1, s14
	s_delay_alu instid0(SALU_CYCLE_1) | instskip(NEXT) | instid1(SALU_CYCLE_1)
	s_add_i32 s1, s4, s1
	s_lshl_b64 s[0:1], s[0:1], 1
	s_delay_alu instid0(VALU_DEP_1) | instskip(SKIP_2) | instid1(SALU_CYCLE_1)
	v_add_f32_e32 v0, v16, v0
	s_add_u32 s20, s3, s0
	s_addc_u32 s0, s2, s1
	s_and_b32 s21, s0, 0xffff
	s_delay_alu instid0(VALU_DEP_1) | instskip(SKIP_1) | instid1(VALU_DEP_2)
	v_mul_f32_e32 v14, 0x4b800000, v0
	v_cmp_gt_f32_e32 vcc_lo, 0x800000, v0
	v_cndmask_b32_e32 v0, v0, v14, vcc_lo
	s_delay_alu instid0(VALU_DEP_1) | instskip(SKIP_2) | instid1(VALU_DEP_1)
	v_rsq_f32_e32 v0, v0
	s_waitcnt_depctr 0xfff
	v_mul_f32_e32 v14, 0x45800000, v0
	v_cndmask_b32_e32 v0, v0, v14, vcc_lo
	s_delay_alu instid0(VALU_DEP_1)
	v_mul_f32_e32 v14, v0, v6
	v_mul_f32_e32 v6, v0, v12
	;; [unrolled: 1-line block ×8, first 2 shown]
	v_fma_mixlo_f16 v9, v11, v4, 0 op_sel_hi:[0,1,0]
	v_fma_mixlo_f16 v8, v8, v3, 0 op_sel_hi:[0,1,0]
	;; [unrolled: 1-line block ×4, first 2 shown]
	s_delay_alu instid0(VALU_DEP_4) | instskip(NEXT) | instid1(VALU_DEP_4)
	v_fma_mixhi_f16 v9, v0, v4, 0 op_sel:[0,1,0] op_sel_hi:[0,1,0]
	v_fma_mixhi_f16 v8, v13, v3, 0 op_sel:[0,1,0] op_sel_hi:[0,1,0]
	s_delay_alu instid0(VALU_DEP_4) | instskip(NEXT) | instid1(VALU_DEP_4)
	v_fma_mixhi_f16 v7, v12, v2, 0 op_sel:[0,1,0] op_sel_hi:[0,1,0]
	v_fma_mixhi_f16 v6, v14, v1, 0 op_sel:[0,1,0] op_sel_hi:[0,1,0]
	buffer_store_b128 v[6:9], v5, s[20:23], 0 offen
	;;#ASMSTART
	s_nop 0
	;;#ASMEND
.LBB11_4:
	s_nop 0
	s_sendmsg sendmsg(MSG_DEALLOC_VGPRS)
	s_endpgm
	.section	.rodata,"a",@progbits
	.p2align	6, 0x0
	.amdhsa_kernel _ZN5aiter23fused_qk_rmsnorm_kernelIDF16_Li256ELi8ELb1ELi1EEEvPT_S2_PKS1_S4_S4_S4_ffiiiiiii
		.amdhsa_group_segment_fixed_size 32
		.amdhsa_private_segment_fixed_size 0
		.amdhsa_kernarg_size 84
		.amdhsa_user_sgpr_count 14
		.amdhsa_user_sgpr_dispatch_ptr 0
		.amdhsa_user_sgpr_queue_ptr 0
		.amdhsa_user_sgpr_kernarg_segment_ptr 1
		.amdhsa_user_sgpr_dispatch_id 0
		.amdhsa_user_sgpr_private_segment_size 0
		.amdhsa_wavefront_size32 1
		.amdhsa_uses_dynamic_stack 0
		.amdhsa_enable_private_segment 0
		.amdhsa_system_sgpr_workgroup_id_x 1
		.amdhsa_system_sgpr_workgroup_id_y 1
		.amdhsa_system_sgpr_workgroup_id_z 0
		.amdhsa_system_sgpr_workgroup_info 0
		.amdhsa_system_vgpr_workitem_id 0
		.amdhsa_next_free_vgpr 20
		.amdhsa_next_free_sgpr 28
		.amdhsa_reserve_vcc 1
		.amdhsa_float_round_mode_32 0
		.amdhsa_float_round_mode_16_64 0
		.amdhsa_float_denorm_mode_32 3
		.amdhsa_float_denorm_mode_16_64 3
		.amdhsa_dx10_clamp 1
		.amdhsa_ieee_mode 1
		.amdhsa_fp16_overflow 0
		.amdhsa_workgroup_processor_mode 1
		.amdhsa_memory_ordered 1
		.amdhsa_forward_progress 0
		.amdhsa_shared_vgpr_count 0
		.amdhsa_exception_fp_ieee_invalid_op 0
		.amdhsa_exception_fp_denorm_src 0
		.amdhsa_exception_fp_ieee_div_zero 0
		.amdhsa_exception_fp_ieee_overflow 0
		.amdhsa_exception_fp_ieee_underflow 0
		.amdhsa_exception_fp_ieee_inexact 0
		.amdhsa_exception_int_div_zero 0
	.end_amdhsa_kernel
	.section	.text._ZN5aiter23fused_qk_rmsnorm_kernelIDF16_Li256ELi8ELb1ELi1EEEvPT_S2_PKS1_S4_S4_S4_ffiiiiiii,"axG",@progbits,_ZN5aiter23fused_qk_rmsnorm_kernelIDF16_Li256ELi8ELb1ELi1EEEvPT_S2_PKS1_S4_S4_S4_ffiiiiiii,comdat
.Lfunc_end11:
	.size	_ZN5aiter23fused_qk_rmsnorm_kernelIDF16_Li256ELi8ELb1ELi1EEEvPT_S2_PKS1_S4_S4_S4_ffiiiiiii, .Lfunc_end11-_ZN5aiter23fused_qk_rmsnorm_kernelIDF16_Li256ELi8ELb1ELi1EEEvPT_S2_PKS1_S4_S4_S4_ffiiiiiii
                                        ; -- End function
	.section	.AMDGPU.csdata,"",@progbits
; Kernel info:
; codeLenInByte = 948
; NumSgprs: 30
; NumVgprs: 20
; ScratchSize: 0
; MemoryBound: 0
; FloatMode: 240
; IeeeMode: 1
; LDSByteSize: 32 bytes/workgroup (compile time only)
; SGPRBlocks: 3
; VGPRBlocks: 2
; NumSGPRsForWavesPerEU: 30
; NumVGPRsForWavesPerEU: 20
; Occupancy: 16
; WaveLimiterHint : 0
; COMPUTE_PGM_RSRC2:SCRATCH_EN: 0
; COMPUTE_PGM_RSRC2:USER_SGPR: 14
; COMPUTE_PGM_RSRC2:TRAP_HANDLER: 0
; COMPUTE_PGM_RSRC2:TGID_X_EN: 1
; COMPUTE_PGM_RSRC2:TGID_Y_EN: 1
; COMPUTE_PGM_RSRC2:TGID_Z_EN: 0
; COMPUTE_PGM_RSRC2:TIDIG_COMP_CNT: 0
	.section	.text._ZN5aiter23fused_qk_rmsnorm_kernelItLi256ELi8ELb1ELi1EEEvPT_S2_PKS1_S4_S4_S4_ffiiiiiii,"axG",@progbits,_ZN5aiter23fused_qk_rmsnorm_kernelItLi256ELi8ELb1ELi1EEEvPT_S2_PKS1_S4_S4_S4_ffiiiiiii,comdat
	.protected	_ZN5aiter23fused_qk_rmsnorm_kernelItLi256ELi8ELb1ELi1EEEvPT_S2_PKS1_S4_S4_S4_ffiiiiiii ; -- Begin function _ZN5aiter23fused_qk_rmsnorm_kernelItLi256ELi8ELb1ELi1EEEvPT_S2_PKS1_S4_S4_S4_ffiiiiiii
	.globl	_ZN5aiter23fused_qk_rmsnorm_kernelItLi256ELi8ELb1ELi1EEEvPT_S2_PKS1_S4_S4_S4_ffiiiiiii
	.p2align	8
	.type	_ZN5aiter23fused_qk_rmsnorm_kernelItLi256ELi8ELb1ELi1EEEvPT_S2_PKS1_S4_S4_S4_ffiiiiiii,@function
_ZN5aiter23fused_qk_rmsnorm_kernelItLi256ELi8ELb1ELi1EEEvPT_S2_PKS1_S4_S4_S4_ffiiiiiii: ; @_ZN5aiter23fused_qk_rmsnorm_kernelItLi256ELi8ELb1ELi1EEEvPT_S2_PKS1_S4_S4_S4_ffiiiiiii
; %bb.0:
	s_load_b256 s[4:11], s[0:1], 0x30
	s_mov_b32 s2, s15
	s_mov_b32 s15, 0
	s_waitcnt lgkmcnt(0)
	s_ashr_i32 s13, s6, 31
	s_mov_b32 s12, s6
	s_delay_alu instid0(SALU_CYCLE_1) | instskip(NEXT) | instid1(VALU_DEP_1)
	v_cmp_ge_i64_e64 s3, s[14:15], s[12:13]
	s_and_b32 vcc_lo, exec_lo, s3
	s_cbranch_vccnz .LBB12_4
; %bb.1:
	s_clause 0x1
	s_load_b256 s[16:23], s[0:1], 0x0
	s_load_b128 s[24:27], s[0:1], 0x20
	s_cmp_eq_u32 s2, 0
	s_load_b32 s0, s[0:1], 0x50
	s_cselect_b32 s2, -1, 0
	v_lshlrev_b32_e32 v5, 4, v0
	s_and_b32 s1, s2, exec_lo
	s_cselect_b32 s3, s9, s10
	s_cselect_b32 s1, s7, s8
	s_mul_hi_u32 s7, s3, s14
	v_and_b32_e32 v16, 31, v0
	s_waitcnt lgkmcnt(0)
	s_cselect_b32 s8, s21, s23
	s_cselect_b32 s9, s20, s22
	;; [unrolled: 1-line block ×4, first 2 shown]
	s_ashr_i32 s6, s3, 31
	s_mov_b32 s23, -1
	s_mul_i32 s12, s6, s14
	s_mul_i32 s6, s3, s14
	s_add_i32 s7, s7, s12
	s_mov_b32 s27, s23
	s_lshl_b64 s[6:7], s[6:7], 1
	s_delay_alu instid0(SALU_CYCLE_1)
	s_add_u32 s24, s9, s6
	s_addc_u32 s3, s8, s7
	s_add_i32 s6, s1, 1
	s_and_b32 s25, s3, 0xffff
	s_lshr_b32 s7, s6, 31
	s_and_b32 s21, s10, 0xffff
	s_add_i32 s6, s6, s7
	s_mov_b32 s3, exec_lo
	s_lshl_b32 s6, s6, 1
	s_delay_alu instid0(SALU_CYCLE_1) | instskip(NEXT) | instid1(SALU_CYCLE_1)
	s_and_b32 s22, s6, -4
	s_mov_b32 s26, s22
	buffer_load_b128 v[10:13], v5, s[24:27], 0 offen glc slc
	s_waitcnt vmcnt(0)
	v_and_b32_e32 v6, 0xffff0000, v10
	v_lshlrev_b32_e32 v8, 16, v11
	v_lshlrev_b32_e32 v7, 16, v10
	v_lshlrev_b32_e32 v10, 16, v12
	s_delay_alu instid0(VALU_DEP_4) | instskip(SKIP_4) | instid1(VALU_DEP_1)
	v_dual_mul_f32 v14, v6, v6 :: v_dual_and_b32 v9, 0xffff0000, v11
	buffer_load_b128 v[1:4], v5, s[20:23], 0 offen
	v_and_b32_e32 v11, 0xffff0000, v12
	v_lshlrev_b32_e32 v12, 16, v13
	v_dual_fmac_f32 v14, v7, v7 :: v_dual_and_b32 v13, 0xffff0000, v13
	v_fmac_f32_e32 v14, v8, v8
	s_delay_alu instid0(VALU_DEP_1) | instskip(NEXT) | instid1(VALU_DEP_1)
	v_fmac_f32_e32 v14, v9, v9
	v_fmac_f32_e32 v14, v10, v10
	s_delay_alu instid0(VALU_DEP_1) | instskip(NEXT) | instid1(VALU_DEP_1)
	v_fmac_f32_e32 v14, v11, v11
	;; [unrolled: 3-line block ×3, first 2 shown]
	v_mov_b32_dpp v15, v14 quad_perm:[1,0,3,2] row_mask:0xf bank_mask:0xf
	s_delay_alu instid0(VALU_DEP_1) | instskip(NEXT) | instid1(VALU_DEP_1)
	v_add_f32_e32 v14, v14, v15
	v_mov_b32_dpp v15, v14 quad_perm:[2,3,0,1] row_mask:0xf bank_mask:0xf
	s_delay_alu instid0(VALU_DEP_1) | instskip(NEXT) | instid1(VALU_DEP_1)
	v_add_f32_e32 v14, v14, v15
	v_mov_b32_dpp v15, v14 row_xmask:7 row_mask:0xf bank_mask:0xf
	s_delay_alu instid0(VALU_DEP_1) | instskip(NEXT) | instid1(VALU_DEP_1)
	v_add_f32_e32 v14, v14, v15
	v_mov_b32_dpp v15, v14 row_xmask:15 row_mask:0xf bank_mask:0xf
	v_cmpx_eq_u32_e32 31, v16
	s_cbranch_execz .LBB12_3
; %bb.2:
	v_lshrrev_b32_e32 v16, 3, v0
	s_delay_alu instid0(VALU_DEP_3)
	v_add_f32_e32 v14, v14, v15
	s_mov_b32 s6, 0x76543210
	s_delay_alu instid0(VALU_DEP_1) | instid1(SALU_CYCLE_1)
	v_permlanex16_b32 v15, v14, s6, 0xfedcba98 op_sel:[1,1]
	s_delay_alu instid0(VALU_DEP_1)
	v_dual_add_f32 v14, v14, v15 :: v_dual_and_b32 v15, 0x7c, v16
	ds_store_b32 v15, v14
.LBB12_3:
	s_or_b32 exec_lo, exec_lo, s3
	v_and_b32_e32 v0, 7, v0
	s_waitcnt vmcnt(0) lgkmcnt(0)
	s_barrier
	buffer_gl0_inv
	v_cvt_f32_i32_e32 v15, s1
	v_lshlrev_b32_e32 v0, 2, v0
	s_and_b32 s1, s2, exec_lo
	s_cselect_b32 s0, s11, s0
	s_cselect_b32 s3, s16, s18
	ds_load_b32 v0, v0
	s_waitcnt lgkmcnt(0)
	v_mov_b32_dpp v14, v0 quad_perm:[1,0,3,2] row_mask:0xf bank_mask:0xf
	s_delay_alu instid0(VALU_DEP_1) | instskip(NEXT) | instid1(VALU_DEP_1)
	v_add_f32_e32 v0, v0, v14
	v_mov_b32_dpp v14, v0 quad_perm:[2,3,0,1] row_mask:0xf bank_mask:0xf
	s_delay_alu instid0(VALU_DEP_1) | instskip(NEXT) | instid1(VALU_DEP_1)
	v_add_f32_e32 v0, v0, v14
	v_mov_b32_dpp v14, v0 row_xmask:7 row_mask:0xf bank_mask:0xf
	s_delay_alu instid0(VALU_DEP_1) | instskip(NEXT) | instid1(VALU_DEP_1)
	v_add_f32_e32 v0, v0, v14
	v_div_scale_f32 v14, null, v15, v15, v0
	v_div_scale_f32 v18, vcc_lo, v0, v15, v0
	s_delay_alu instid0(VALU_DEP_2) | instskip(SKIP_2) | instid1(VALU_DEP_1)
	v_rcp_f32_e32 v16, v14
	s_waitcnt_depctr 0xfff
	v_fma_f32 v17, -v14, v16, 1.0
	v_fmac_f32_e32 v16, v17, v16
	s_delay_alu instid0(VALU_DEP_1) | instskip(NEXT) | instid1(VALU_DEP_1)
	v_mul_f32_e32 v17, v18, v16
	v_fma_f32 v19, -v14, v17, v18
	s_delay_alu instid0(VALU_DEP_1) | instskip(NEXT) | instid1(VALU_DEP_1)
	v_fmac_f32_e32 v17, v19, v16
	v_fma_f32 v14, -v14, v17, v18
	v_mov_b32_e32 v18, s4
	s_mul_hi_u32 s4, s0, s14
	s_delay_alu instid0(VALU_DEP_2) | instskip(NEXT) | instid1(VALU_DEP_2)
	v_div_fmas_f32 v14, v14, v16, v17
	v_cndmask_b32_e64 v16, s5, v18, s2
	s_cselect_b32 s2, s17, s19
	s_ashr_i32 s1, s0, 31
	s_mul_i32 s0, s0, s14
	v_div_fixup_f32 v0, v14, v15, v0
	s_mul_i32 s1, s1, s14
	v_and_b32_e32 v17, 0xffff, v4
	v_lshrrev_b32_e32 v4, 16, v4
	s_add_i32 s1, s4, s1
	v_add_f32_e32 v0, v16, v0
	s_lshl_b64 s[0:1], s[0:1], 1
	v_cvt_f32_u32_e32 v17, v17
	v_cvt_f32_u32_e32 v4, v4
	s_add_u32 s20, s3, s0
	v_mul_f32_e32 v15, 0x4b800000, v0
	v_cmp_gt_f32_e32 vcc_lo, 0x800000, v0
	s_addc_u32 s0, s2, s1
	s_delay_alu instid0(SALU_CYCLE_1) | instskip(NEXT) | instid1(VALU_DEP_2)
	s_and_b32 s21, s0, 0xffff
	v_cndmask_b32_e32 v0, v0, v15, vcc_lo
	v_and_b32_e32 v15, 0xffff, v3
	v_lshrrev_b32_e32 v3, 16, v3
	s_delay_alu instid0(VALU_DEP_3) | instskip(NEXT) | instid1(VALU_DEP_2)
	v_rsq_f32_e32 v0, v0
	v_cvt_f32_u32_e32 v15, v15
	s_delay_alu instid0(VALU_DEP_2) | instskip(SKIP_2) | instid1(VALU_DEP_1)
	v_cvt_f32_u32_e32 v3, v3
	s_waitcnt_depctr 0xfff
	v_mul_f32_e32 v18, 0x45800000, v0
	v_cndmask_b32_e32 v0, v0, v18, vcc_lo
	v_and_b32_e32 v14, 0xffff, v1
	v_lshrrev_b32_e32 v1, 16, v1
	v_and_b32_e32 v16, 0xffff, v2
	v_lshrrev_b32_e32 v2, 16, v2
	v_mul_f32_e32 v9, v0, v9
	v_mul_f32_e32 v7, v0, v7
	v_cvt_f32_u32_e32 v1, v1
	v_cvt_f32_u32_e32 v16, v16
	;; [unrolled: 1-line block ×3, first 2 shown]
	v_mul_f32_e32 v6, v0, v6
	v_mul_f32_e32 v8, v0, v8
	;; [unrolled: 1-line block ×4, first 2 shown]
	v_cvt_f32_u32_e32 v14, v14
	v_mul_f32_e32 v12, v0, v12
	v_mul_f32_e32 v0, v0, v13
	;; [unrolled: 1-line block ×3, first 2 shown]
	s_delay_alu instid0(VALU_DEP_4) | instskip(NEXT) | instid1(VALU_DEP_4)
	v_dual_mul_f32 v10, v10, v15 :: v_dual_mul_f32 v7, v7, v14
	v_mul_f32_e32 v12, v12, v17
	s_delay_alu instid0(VALU_DEP_4) | instskip(SKIP_2) | instid1(VALU_DEP_3)
	v_mul_f32_e32 v0, v0, v4
	v_dual_mul_f32 v4, v11, v3 :: v_dual_mul_f32 v9, v9, v2
	v_mul_f32_e32 v6, v6, v1
	v_perm_b32 v3, v0, v12, 0x7060302
	s_delay_alu instid0(VALU_DEP_3) | instskip(NEXT) | instid1(VALU_DEP_4)
	v_perm_b32 v2, v4, v10, 0x7060302
	v_perm_b32 v1, v9, v8, 0x7060302
	s_delay_alu instid0(VALU_DEP_4)
	v_perm_b32 v0, v6, v7, 0x7060302
	buffer_store_b128 v[0:3], v5, s[20:23], 0 offen
	;;#ASMSTART
	s_nop 0
	;;#ASMEND
.LBB12_4:
	s_nop 0
	s_sendmsg sendmsg(MSG_DEALLOC_VGPRS)
	s_endpgm
	.section	.rodata,"a",@progbits
	.p2align	6, 0x0
	.amdhsa_kernel _ZN5aiter23fused_qk_rmsnorm_kernelItLi256ELi8ELb1ELi1EEEvPT_S2_PKS1_S4_S4_S4_ffiiiiiii
		.amdhsa_group_segment_fixed_size 32
		.amdhsa_private_segment_fixed_size 0
		.amdhsa_kernarg_size 84
		.amdhsa_user_sgpr_count 14
		.amdhsa_user_sgpr_dispatch_ptr 0
		.amdhsa_user_sgpr_queue_ptr 0
		.amdhsa_user_sgpr_kernarg_segment_ptr 1
		.amdhsa_user_sgpr_dispatch_id 0
		.amdhsa_user_sgpr_private_segment_size 0
		.amdhsa_wavefront_size32 1
		.amdhsa_uses_dynamic_stack 0
		.amdhsa_enable_private_segment 0
		.amdhsa_system_sgpr_workgroup_id_x 1
		.amdhsa_system_sgpr_workgroup_id_y 1
		.amdhsa_system_sgpr_workgroup_id_z 0
		.amdhsa_system_sgpr_workgroup_info 0
		.amdhsa_system_vgpr_workitem_id 0
		.amdhsa_next_free_vgpr 20
		.amdhsa_next_free_sgpr 28
		.amdhsa_reserve_vcc 1
		.amdhsa_float_round_mode_32 0
		.amdhsa_float_round_mode_16_64 0
		.amdhsa_float_denorm_mode_32 3
		.amdhsa_float_denorm_mode_16_64 3
		.amdhsa_dx10_clamp 1
		.amdhsa_ieee_mode 1
		.amdhsa_fp16_overflow 0
		.amdhsa_workgroup_processor_mode 1
		.amdhsa_memory_ordered 1
		.amdhsa_forward_progress 0
		.amdhsa_shared_vgpr_count 0
		.amdhsa_exception_fp_ieee_invalid_op 0
		.amdhsa_exception_fp_denorm_src 0
		.amdhsa_exception_fp_ieee_div_zero 0
		.amdhsa_exception_fp_ieee_overflow 0
		.amdhsa_exception_fp_ieee_underflow 0
		.amdhsa_exception_fp_ieee_inexact 0
		.amdhsa_exception_int_div_zero 0
	.end_amdhsa_kernel
	.section	.text._ZN5aiter23fused_qk_rmsnorm_kernelItLi256ELi8ELb1ELi1EEEvPT_S2_PKS1_S4_S4_S4_ffiiiiiii,"axG",@progbits,_ZN5aiter23fused_qk_rmsnorm_kernelItLi256ELi8ELb1ELi1EEEvPT_S2_PKS1_S4_S4_S4_ffiiiiiii,comdat
.Lfunc_end12:
	.size	_ZN5aiter23fused_qk_rmsnorm_kernelItLi256ELi8ELb1ELi1EEEvPT_S2_PKS1_S4_S4_S4_ffiiiiiii, .Lfunc_end12-_ZN5aiter23fused_qk_rmsnorm_kernelItLi256ELi8ELb1ELi1EEEvPT_S2_PKS1_S4_S4_S4_ffiiiiiii
                                        ; -- End function
	.section	.AMDGPU.csdata,"",@progbits
; Kernel info:
; codeLenInByte = 1012
; NumSgprs: 30
; NumVgprs: 20
; ScratchSize: 0
; MemoryBound: 0
; FloatMode: 240
; IeeeMode: 1
; LDSByteSize: 32 bytes/workgroup (compile time only)
; SGPRBlocks: 3
; VGPRBlocks: 2
; NumSGPRsForWavesPerEU: 30
; NumVGPRsForWavesPerEU: 20
; Occupancy: 16
; WaveLimiterHint : 0
; COMPUTE_PGM_RSRC2:SCRATCH_EN: 0
; COMPUTE_PGM_RSRC2:USER_SGPR: 14
; COMPUTE_PGM_RSRC2:TRAP_HANDLER: 0
; COMPUTE_PGM_RSRC2:TGID_X_EN: 1
; COMPUTE_PGM_RSRC2:TGID_Y_EN: 1
; COMPUTE_PGM_RSRC2:TGID_Z_EN: 0
; COMPUTE_PGM_RSRC2:TIDIG_COMP_CNT: 0
	.section	.text._ZN5aiter23fused_qk_rmsnorm_kernelIDF16_Li256ELi16ELb1ELi2EEEvPT_S2_PKS1_S4_S4_S4_ffiiiiiii,"axG",@progbits,_ZN5aiter23fused_qk_rmsnorm_kernelIDF16_Li256ELi16ELb1ELi2EEEvPT_S2_PKS1_S4_S4_S4_ffiiiiiii,comdat
	.protected	_ZN5aiter23fused_qk_rmsnorm_kernelIDF16_Li256ELi16ELb1ELi2EEEvPT_S2_PKS1_S4_S4_S4_ffiiiiiii ; -- Begin function _ZN5aiter23fused_qk_rmsnorm_kernelIDF16_Li256ELi16ELb1ELi2EEEvPT_S2_PKS1_S4_S4_S4_ffiiiiiii
	.globl	_ZN5aiter23fused_qk_rmsnorm_kernelIDF16_Li256ELi16ELb1ELi2EEEvPT_S2_PKS1_S4_S4_S4_ffiiiiiii
	.p2align	8
	.type	_ZN5aiter23fused_qk_rmsnorm_kernelIDF16_Li256ELi16ELb1ELi2EEEvPT_S2_PKS1_S4_S4_S4_ffiiiiiii,@function
_ZN5aiter23fused_qk_rmsnorm_kernelIDF16_Li256ELi16ELb1ELi2EEEvPT_S2_PKS1_S4_S4_S4_ffiiiiiii: ; @_ZN5aiter23fused_qk_rmsnorm_kernelIDF16_Li256ELi16ELb1ELi2EEEvPT_S2_PKS1_S4_S4_S4_ffiiiiiii
; %bb.0:
	s_load_b256 s[4:11], s[0:1], 0x30
	s_mov_b32 s2, s14
	s_mov_b32 s3, 0
	s_delay_alu instid0(SALU_CYCLE_1) | instskip(SKIP_3) | instid1(SALU_CYCLE_1)
	s_lshl_b64 s[2:3], s[2:3], 1
	s_waitcnt lgkmcnt(0)
	s_ashr_i32 s13, s6, 31
	s_mov_b32 s12, s6
	v_cmp_ge_i64_e64 s6, s[2:3], s[12:13]
	s_delay_alu instid0(VALU_DEP_1)
	s_and_b32 vcc_lo, exec_lo, s6
	s_cbranch_vccnz .LBB13_10
; %bb.1:
	s_clause 0x2
	s_load_b256 s[16:23], s[0:1], 0x0
	s_load_b128 s[24:27], s[0:1], 0x20
	s_load_b32 s0, s[0:1], 0x50
	s_cmp_eq_u32 s15, 0
	v_dual_mov_b32 v1, s4 :: v_dual_lshlrev_b32 v2, 5, v0
	s_cselect_b32 vcc_lo, -1, 0
	v_and_b32_e32 v19, 31, v0
	s_and_b32 s1, vcc_lo, exec_lo
	s_cselect_b32 s28, s9, s10
	v_cndmask_b32_e32 v17, s5, v1, vcc_lo
	s_cselect_b32 s30, s7, s8
	s_mul_i32 s7, s3, s28
	v_lshlrev_b32_e32 v1, 4, v0
	v_and_b32_e32 v2, 0x7c00, v2
	v_and_b32_e32 v21, 7, v0
	v_lshrrev_b32_e32 v20, 3, v0
	s_delay_alu instid0(VALU_DEP_3)
	v_and_or_b32 v18, 0x1f0, v1, v2
	s_waitcnt lgkmcnt(0)
	s_cselect_b32 s5, s21, s23
	s_cselect_b32 s8, s20, s22
	;; [unrolled: 1-line block ×7, first 2 shown]
	s_ashr_i32 s29, s28, 31
	s_mul_hi_u32 s0, s2, s28
	s_mul_i32 s6, s2, s29
	s_movk_i32 s16, 0x200
	s_add_i32 s0, s0, s6
	s_mul_i32 s6, s2, s28
	s_add_i32 s7, s0, s7
	v_and_b32_e32 v0, 0x7c, v20
	s_lshl_b64 s[6:7], s[6:7], 1
	v_cvt_f32_i32_e32 v20, s30
	s_add_u32 s8, s8, s6
	s_addc_u32 s18, s5, s7
	s_add_i32 s0, s30, 1
	s_mov_b32 s7, -1
	s_lshr_b32 s5, s0, 31
	s_mov_b32 s11, s7
	s_add_i32 s0, s0, s5
	s_and_b32 s5, s9, 0xffff
	s_lshl_b32 s0, s0, 1
	s_and_b32 s9, s18, 0xffff
	s_and_b32 s6, s0, -4
	v_cmp_eq_u32_e64 s0, 31, v19
	s_clause 0x1
	buffer_load_b128 v[9:12], v18, s[4:7], 0 offen
	buffer_load_b128 v[13:16], v18, s[4:7], s16 offen
	s_mov_b32 s10, s6
	s_clause 0x1
	buffer_load_b128 v[1:4], v18, s[8:11], 0 offen glc slc
	buffer_load_b128 v[5:8], v18, s[8:11], s16 offen glc slc
	v_lshlrev_b32_e32 v19, 2, v21
	s_mov_b32 s5, s3
	s_or_b32 s4, s2, 1
	s_lshl_b64 s[10:11], s[28:29], 1
	v_cmp_lt_u64_e64 s17, s[4:5], s[12:13]
	s_add_u32 s8, s8, s10
	s_addc_u32 s4, s18, s11
	s_mov_b64 s[10:11], s[6:7]
	s_ashr_i32 s18, s15, 31
	s_and_b32 s9, s4, 0xffff
	s_mov_b64 s[4:5], 0
	s_mov_b32 s19, 0x76543210
	s_mov_b32 s20, s7
	s_waitcnt vmcnt(3)
	v_cvt_f32_f16_e32 v21, v9
	v_lshrrev_b32_e32 v9, 16, v9
	v_cvt_f32_f16_e32 v22, v10
	v_lshrrev_b32_e32 v10, 16, v10
	;; [unrolled: 2-line block ×4, first 2 shown]
	s_waitcnt vmcnt(2)
	v_cvt_f32_f16_e32 v25, v13
	v_lshrrev_b32_e32 v13, 16, v13
	v_cvt_f32_f16_e32 v26, v14
	v_lshrrev_b32_e32 v14, 16, v14
	;; [unrolled: 2-line block ×4, first 2 shown]
	v_cvt_f32_f16_e32 v29, v9
	v_cvt_f32_f16_e32 v30, v10
	;; [unrolled: 1-line block ×8, first 2 shown]
	s_branch .LBB13_4
.LBB13_2:                               ;   in Loop: Header=BB13_4 Depth=1
	s_or_b32 exec_lo, exec_lo, s22
	s_waitcnt vmcnt(0) lgkmcnt(0)
	s_waitcnt_vscnt null, 0x0
	s_barrier
	buffer_gl0_inv
	ds_load_b32 v38, v19
	v_cvt_f32_f16_e32 v1, v1
	v_lshrrev_b32_e32 v44, 16, v6
	v_cvt_f32_f16_e32 v6, v6
	v_lshrrev_b32_e32 v45, 16, v8
	v_cvt_f32_f16_e32 v8, v8
	s_mul_i32 s22, s4, s18
	v_cvt_f32_f16_e32 v44, v44
	s_mul_hi_u32 s23, s4, s15
	v_cvt_f32_f16_e32 v45, v45
	s_mul_i32 s5, s5, s15
	s_add_i32 s22, s23, s22
	s_mul_i32 s4, s4, s15
	s_add_i32 s5, s22, s5
	s_delay_alu instid0(SALU_CYCLE_1) | instskip(NEXT) | instid1(SALU_CYCLE_1)
	s_lshl_b64 s[4:5], s[4:5], 1
	s_add_u32 s4, s14, s4
	s_addc_u32 s5, s1, s5
	s_waitcnt lgkmcnt(0)
	v_mov_b32_dpp v39, v38 quad_perm:[1,0,3,2] row_mask:0xf bank_mask:0xf
	s_and_b32 s5, s5, 0xffff
	s_delay_alu instid0(VALU_DEP_1) | instskip(NEXT) | instid1(VALU_DEP_1)
	v_add_f32_e32 v38, v38, v39
	v_mov_b32_dpp v39, v38 quad_perm:[2,3,0,1] row_mask:0xf bank_mask:0xf
	s_delay_alu instid0(VALU_DEP_1) | instskip(NEXT) | instid1(VALU_DEP_1)
	v_add_f32_e32 v38, v38, v39
	v_mov_b32_dpp v39, v38 row_xmask:7 row_mask:0xf bank_mask:0xf
	s_delay_alu instid0(VALU_DEP_1) | instskip(NEXT) | instid1(VALU_DEP_1)
	v_add_f32_e32 v38, v38, v39
	v_div_scale_f32 v39, null, v20, v20, v38
	v_div_scale_f32 v42, vcc_lo, v38, v20, v38
	s_delay_alu instid0(VALU_DEP_2) | instskip(SKIP_2) | instid1(VALU_DEP_1)
	v_rcp_f32_e32 v40, v39
	s_waitcnt_depctr 0xfff
	v_fma_f32 v41, -v39, v40, 1.0
	v_fmac_f32_e32 v40, v41, v40
	s_delay_alu instid0(VALU_DEP_1) | instskip(NEXT) | instid1(VALU_DEP_1)
	v_mul_f32_e32 v41, v42, v40
	v_fma_f32 v43, -v39, v41, v42
	s_delay_alu instid0(VALU_DEP_1) | instskip(SKIP_2) | instid1(VALU_DEP_3)
	v_fmac_f32_e32 v41, v43, v40
	v_lshrrev_b32_e32 v43, 16, v5
	v_cvt_f32_f16_e32 v5, v5
	v_fma_f32 v39, -v39, v41, v42
	s_delay_alu instid0(VALU_DEP_3) | instskip(NEXT) | instid1(VALU_DEP_2)
	v_cvt_f32_f16_e32 v43, v43
	v_div_fmas_f32 v39, v39, v40, v41
	v_lshrrev_b32_e32 v40, 16, v3
	v_cvt_f32_f16_e32 v3, v3
	v_lshrrev_b32_e32 v41, 16, v4
	v_cvt_f32_f16_e32 v4, v4
	v_div_fixup_f32 v38, v39, v20, v38
	v_lshrrev_b32_e32 v39, 16, v2
	v_cvt_f32_f16_e32 v2, v2
	v_cvt_f32_f16_e32 v40, v40
	;; [unrolled: 1-line block ×3, first 2 shown]
	v_add_f32_e32 v38, v17, v38
	v_cvt_f32_f16_e32 v39, v39
	s_delay_alu instid0(VALU_DEP_2) | instskip(SKIP_1) | instid1(VALU_DEP_2)
	v_mul_f32_e32 v42, 0x4b800000, v38
	v_cmp_gt_f32_e32 vcc_lo, 0x800000, v38
	v_cndmask_b32_e32 v38, v38, v42, vcc_lo
	v_lshrrev_b32_e32 v42, 16, v7
	v_cvt_f32_f16_e32 v7, v7
	s_delay_alu instid0(VALU_DEP_3) | instskip(NEXT) | instid1(VALU_DEP_2)
	v_rsq_f32_e32 v38, v38
	v_cvt_f32_f16_e32 v42, v42
	s_waitcnt_depctr 0xfff
	v_mul_f32_e32 v46, 0x45800000, v38
	s_delay_alu instid0(VALU_DEP_1) | instskip(NEXT) | instid1(VALU_DEP_1)
	v_cndmask_b32_e32 v38, v38, v46, vcc_lo
	v_mul_f32_e32 v39, v38, v39
	v_mul_f32_e32 v1, v38, v1
	;; [unrolled: 1-line block ×16, first 2 shown]
	v_fma_mixlo_f16 v1, v1, v21, 0
	v_fma_mixlo_f16 v2, v2, v22, 0
	v_fma_mixlo_f16 v3, v3, v23, 0
	v_fma_mixlo_f16 v4, v4, v24, 0
	v_fma_mixlo_f16 v5, v5, v25, 0
	v_fma_mixlo_f16 v6, v6, v26, 0
	v_fma_mixlo_f16 v7, v7, v27, 0
	v_fma_mixlo_f16 v8, v8, v28, 0
	v_fma_mixhi_f16 v4, v41, v32, 0
	v_fma_mixhi_f16 v3, v40, v31, 0
	;; [unrolled: 1-line block ×8, first 2 shown]
	buffer_store_b128 v[1:4], v18, s[4:7], 0 offen
	;;#ASMSTART
	s_nop 0
	;;#ASMEND
	buffer_store_b128 v[5:8], v18, s[4:7], s16 offen
	;;#ASMSTART
	s_nop 0
	;;#ASMEND
.LBB13_3:                               ;   in Loop: Header=BB13_4 Depth=1
	s_delay_alu instid0(VALU_DEP_1) | instskip(NEXT) | instid1(VALU_DEP_3)
	v_dual_mov_b32 v1, v9 :: v_dual_mov_b32 v2, v10
	v_dual_mov_b32 v3, v11 :: v_dual_mov_b32 v4, v12
	;; [unrolled: 1-line block ×4, first 2 shown]
	s_and_b32 s20, s21, s20
	s_mov_b64 s[4:5], 1
	s_and_b32 vcc_lo, exec_lo, s20
	s_mov_b32 s20, 0
	s_cbranch_vccz .LBB13_10
.LBB13_4:                               ; =>This Inner Loop Header: Depth=1
	s_or_b64 s[4:5], s[2:3], s[4:5]
	s_delay_alu instid0(SALU_CYCLE_1) | instskip(SKIP_1) | instid1(VALU_DEP_2)
	v_cmp_ge_i64_e64 s22, s[4:5], s[12:13]
	v_cmp_lt_i64_e64 s21, s[4:5], s[12:13]
	s_and_b32 vcc_lo, exec_lo, s22
	s_cbranch_vccnz .LBB13_9
; %bb.5:                                ;   in Loop: Header=BB13_4 Depth=1
	s_waitcnt vmcnt(0)
	v_dual_mov_b32 v16, v8 :: v_dual_mov_b32 v15, v7
	v_dual_mov_b32 v14, v6 :: v_dual_mov_b32 v13, v5
	;; [unrolled: 1-line block ×4, first 2 shown]
	s_and_b32 s22, s20, s17
	s_delay_alu instid0(SALU_CYCLE_1)
	s_and_not1_b32 vcc_lo, exec_lo, s22
	s_cbranch_vccnz .LBB13_7
; %bb.6:                                ;   in Loop: Header=BB13_4 Depth=1
	s_clause 0x1
	buffer_load_b128 v[9:12], v18, s[8:11], 0 offen glc slc
	buffer_load_b128 v[13:16], v18, s[8:11], s16 offen glc slc
.LBB13_7:                               ;   in Loop: Header=BB13_4 Depth=1
	v_lshrrev_b32_e32 v37, 16, v1
	s_delay_alu instid0(VALU_DEP_1) | instskip(NEXT) | instid1(VALU_DEP_1)
	v_cvt_f32_f16_e32 v37, v37
	v_mul_f32_e32 v38, v37, v37
	s_delay_alu instid0(VALU_DEP_1) | instskip(NEXT) | instid1(VALU_DEP_1)
	v_fma_mix_f32 v38, v1, v1, v38 op_sel_hi:[1,1,0]
	v_fma_mix_f32 v38, v2, v2, v38 op_sel_hi:[1,1,0]
	s_delay_alu instid0(VALU_DEP_1) | instskip(NEXT) | instid1(VALU_DEP_1)
	v_fma_mix_f32 v38, v2, v2, v38 op_sel:[1,1,0] op_sel_hi:[1,1,0]
	v_fma_mix_f32 v38, v3, v3, v38 op_sel_hi:[1,1,0]
	s_delay_alu instid0(VALU_DEP_1) | instskip(NEXT) | instid1(VALU_DEP_1)
	v_fma_mix_f32 v38, v3, v3, v38 op_sel:[1,1,0] op_sel_hi:[1,1,0]
	;; [unrolled: 3-line block ×7, first 2 shown]
	v_mov_b32_dpp v39, v38 quad_perm:[1,0,3,2] row_mask:0xf bank_mask:0xf
	s_delay_alu instid0(VALU_DEP_1) | instskip(NEXT) | instid1(VALU_DEP_1)
	v_add_f32_e32 v38, v38, v39
	v_mov_b32_dpp v39, v38 quad_perm:[2,3,0,1] row_mask:0xf bank_mask:0xf
	s_delay_alu instid0(VALU_DEP_1) | instskip(NEXT) | instid1(VALU_DEP_1)
	v_add_f32_e32 v38, v38, v39
	v_mov_b32_dpp v39, v38 row_xmask:7 row_mask:0xf bank_mask:0xf
	s_delay_alu instid0(VALU_DEP_1) | instskip(NEXT) | instid1(VALU_DEP_1)
	v_add_f32_e32 v38, v38, v39
	v_mov_b32_dpp v39, v38 row_xmask:15 row_mask:0xf bank_mask:0xf
	s_and_saveexec_b32 s22, s0
	s_cbranch_execz .LBB13_2
; %bb.8:                                ;   in Loop: Header=BB13_4 Depth=1
	s_delay_alu instid0(VALU_DEP_1) | instskip(NEXT) | instid1(VALU_DEP_1)
	v_add_f32_e32 v38, v38, v39
	v_permlanex16_b32 v39, v38, s19, 0xfedcba98 op_sel:[1,1]
	s_delay_alu instid0(VALU_DEP_1)
	v_add_f32_e32 v38, v38, v39
	ds_store_b32 v0, v38
	s_branch .LBB13_2
.LBB13_9:                               ;   in Loop: Header=BB13_4 Depth=1
	s_waitcnt vmcnt(0)
	v_dual_mov_b32 v16, v8 :: v_dual_mov_b32 v15, v7
	v_dual_mov_b32 v14, v6 :: v_dual_mov_b32 v13, v5
	;; [unrolled: 1-line block ×4, first 2 shown]
	s_branch .LBB13_3
.LBB13_10:
	s_nop 0
	s_sendmsg sendmsg(MSG_DEALLOC_VGPRS)
	s_endpgm
	.section	.rodata,"a",@progbits
	.p2align	6, 0x0
	.amdhsa_kernel _ZN5aiter23fused_qk_rmsnorm_kernelIDF16_Li256ELi16ELb1ELi2EEEvPT_S2_PKS1_S4_S4_S4_ffiiiiiii
		.amdhsa_group_segment_fixed_size 32
		.amdhsa_private_segment_fixed_size 0
		.amdhsa_kernarg_size 84
		.amdhsa_user_sgpr_count 14
		.amdhsa_user_sgpr_dispatch_ptr 0
		.amdhsa_user_sgpr_queue_ptr 0
		.amdhsa_user_sgpr_kernarg_segment_ptr 1
		.amdhsa_user_sgpr_dispatch_id 0
		.amdhsa_user_sgpr_private_segment_size 0
		.amdhsa_wavefront_size32 1
		.amdhsa_uses_dynamic_stack 0
		.amdhsa_enable_private_segment 0
		.amdhsa_system_sgpr_workgroup_id_x 1
		.amdhsa_system_sgpr_workgroup_id_y 1
		.amdhsa_system_sgpr_workgroup_id_z 0
		.amdhsa_system_sgpr_workgroup_info 0
		.amdhsa_system_vgpr_workitem_id 0
		.amdhsa_next_free_vgpr 47
		.amdhsa_next_free_sgpr 31
		.amdhsa_reserve_vcc 1
		.amdhsa_float_round_mode_32 0
		.amdhsa_float_round_mode_16_64 0
		.amdhsa_float_denorm_mode_32 3
		.amdhsa_float_denorm_mode_16_64 3
		.amdhsa_dx10_clamp 1
		.amdhsa_ieee_mode 1
		.amdhsa_fp16_overflow 0
		.amdhsa_workgroup_processor_mode 1
		.amdhsa_memory_ordered 1
		.amdhsa_forward_progress 0
		.amdhsa_shared_vgpr_count 0
		.amdhsa_exception_fp_ieee_invalid_op 0
		.amdhsa_exception_fp_denorm_src 0
		.amdhsa_exception_fp_ieee_div_zero 0
		.amdhsa_exception_fp_ieee_overflow 0
		.amdhsa_exception_fp_ieee_underflow 0
		.amdhsa_exception_fp_ieee_inexact 0
		.amdhsa_exception_int_div_zero 0
	.end_amdhsa_kernel
	.section	.text._ZN5aiter23fused_qk_rmsnorm_kernelIDF16_Li256ELi16ELb1ELi2EEEvPT_S2_PKS1_S4_S4_S4_ffiiiiiii,"axG",@progbits,_ZN5aiter23fused_qk_rmsnorm_kernelIDF16_Li256ELi16ELb1ELi2EEEvPT_S2_PKS1_S4_S4_S4_ffiiiiiii,comdat
.Lfunc_end13:
	.size	_ZN5aiter23fused_qk_rmsnorm_kernelIDF16_Li256ELi16ELb1ELi2EEEvPT_S2_PKS1_S4_S4_S4_ffiiiiiii, .Lfunc_end13-_ZN5aiter23fused_qk_rmsnorm_kernelIDF16_Li256ELi16ELb1ELi2EEEvPT_S2_PKS1_S4_S4_S4_ffiiiiiii
                                        ; -- End function
	.section	.AMDGPU.csdata,"",@progbits
; Kernel info:
; codeLenInByte = 1612
; NumSgprs: 33
; NumVgprs: 47
; ScratchSize: 0
; MemoryBound: 0
; FloatMode: 240
; IeeeMode: 1
; LDSByteSize: 32 bytes/workgroup (compile time only)
; SGPRBlocks: 4
; VGPRBlocks: 5
; NumSGPRsForWavesPerEU: 33
; NumVGPRsForWavesPerEU: 47
; Occupancy: 16
; WaveLimiterHint : 0
; COMPUTE_PGM_RSRC2:SCRATCH_EN: 0
; COMPUTE_PGM_RSRC2:USER_SGPR: 14
; COMPUTE_PGM_RSRC2:TRAP_HANDLER: 0
; COMPUTE_PGM_RSRC2:TGID_X_EN: 1
; COMPUTE_PGM_RSRC2:TGID_Y_EN: 1
; COMPUTE_PGM_RSRC2:TGID_Z_EN: 0
; COMPUTE_PGM_RSRC2:TIDIG_COMP_CNT: 0
	.section	.text._ZN5aiter23fused_qk_rmsnorm_kernelItLi256ELi16ELb1ELi2EEEvPT_S2_PKS1_S4_S4_S4_ffiiiiiii,"axG",@progbits,_ZN5aiter23fused_qk_rmsnorm_kernelItLi256ELi16ELb1ELi2EEEvPT_S2_PKS1_S4_S4_S4_ffiiiiiii,comdat
	.protected	_ZN5aiter23fused_qk_rmsnorm_kernelItLi256ELi16ELb1ELi2EEEvPT_S2_PKS1_S4_S4_S4_ffiiiiiii ; -- Begin function _ZN5aiter23fused_qk_rmsnorm_kernelItLi256ELi16ELb1ELi2EEEvPT_S2_PKS1_S4_S4_S4_ffiiiiiii
	.globl	_ZN5aiter23fused_qk_rmsnorm_kernelItLi256ELi16ELb1ELi2EEEvPT_S2_PKS1_S4_S4_S4_ffiiiiiii
	.p2align	8
	.type	_ZN5aiter23fused_qk_rmsnorm_kernelItLi256ELi16ELb1ELi2EEEvPT_S2_PKS1_S4_S4_S4_ffiiiiiii,@function
_ZN5aiter23fused_qk_rmsnorm_kernelItLi256ELi16ELb1ELi2EEEvPT_S2_PKS1_S4_S4_S4_ffiiiiiii: ; @_ZN5aiter23fused_qk_rmsnorm_kernelItLi256ELi16ELb1ELi2EEEvPT_S2_PKS1_S4_S4_S4_ffiiiiiii
; %bb.0:
	s_load_b256 s[4:11], s[0:1], 0x30
	s_mov_b32 s2, s14
	s_mov_b32 s3, 0
	s_delay_alu instid0(SALU_CYCLE_1) | instskip(SKIP_3) | instid1(SALU_CYCLE_1)
	s_lshl_b64 s[2:3], s[2:3], 1
	s_waitcnt lgkmcnt(0)
	s_ashr_i32 s13, s6, 31
	s_mov_b32 s12, s6
	v_cmp_ge_i64_e64 s6, s[2:3], s[12:13]
	s_delay_alu instid0(VALU_DEP_1)
	s_and_b32 vcc_lo, exec_lo, s6
	s_cbranch_vccnz .LBB14_10
; %bb.1:
	s_clause 0x2
	s_load_b256 s[16:23], s[0:1], 0x0
	s_load_b128 s[24:27], s[0:1], 0x20
	s_load_b32 s0, s[0:1], 0x50
	s_cmp_eq_u32 s15, 0
	v_dual_mov_b32 v1, s4 :: v_dual_lshlrev_b32 v2, 5, v0
	s_cselect_b32 vcc_lo, -1, 0
	v_and_b32_e32 v5, 31, v0
	s_and_b32 s1, vcc_lo, exec_lo
	s_cselect_b32 s28, s9, s10
	v_dual_cndmask_b32 v16, s5, v1 :: v_dual_lshlrev_b32 v1, 4, v0
	s_cselect_b32 s30, s7, s8
	s_mul_i32 s7, s3, s28
	v_and_b32_e32 v2, 0x7c00, v2
	v_lshrrev_b32_e32 v6, 3, v0
	v_and_b32_e32 v0, 7, v0
	v_cvt_f32_i32_e32 v20, s30
	s_delay_alu instid0(VALU_DEP_4)
	v_and_or_b32 v17, 0x1f0, v1, v2
	s_waitcnt lgkmcnt(0)
	s_cselect_b32 s5, s21, s23
	s_cselect_b32 s8, s20, s22
	;; [unrolled: 1-line block ×7, first 2 shown]
	s_ashr_i32 s29, s28, 31
	s_mul_hi_u32 s0, s2, s28
	s_mul_i32 s6, s2, s29
	s_movk_i32 s16, 0x200
	s_add_i32 s0, s0, s6
	s_mul_i32 s6, s2, s28
	s_add_i32 s7, s0, s7
	v_and_b32_e32 v18, 0x7c, v6
	s_lshl_b64 s[6:7], s[6:7], 1
	v_lshlrev_b32_e32 v19, 2, v0
	s_add_u32 s8, s8, s6
	s_addc_u32 s18, s5, s7
	s_add_i32 s0, s30, 1
	s_mov_b32 s7, -1
	s_lshr_b32 s5, s0, 31
	s_mov_b32 s11, s7
	s_add_i32 s0, s0, s5
	s_and_b32 s5, s9, 0xffff
	s_lshl_b32 s0, s0, 1
	s_and_b32 s9, s18, 0xffff
	s_and_b32 s6, s0, -4
	v_cmp_eq_u32_e64 s0, 31, v5
	s_clause 0x1
	buffer_load_b128 v[1:4], v17, s[4:7], 0 offen
	buffer_load_b128 v[21:24], v17, s[4:7], s16 offen
	s_mov_b32 s10, s6
	s_clause 0x1
	buffer_load_b128 v[8:11], v17, s[8:11], 0 offen glc slc
	buffer_load_b128 v[12:15], v17, s[8:11], s16 offen glc slc
	s_mov_b32 s5, s3
	s_or_b32 s4, s2, 1
	s_lshl_b64 s[10:11], s[28:29], 1
	v_cmp_lt_u64_e64 s17, s[4:5], s[12:13]
	s_add_u32 s8, s8, s10
	s_addc_u32 s4, s18, s11
	s_mov_b64 s[10:11], s[6:7]
	s_ashr_i32 s18, s15, 31
	s_and_b32 s9, s4, 0xffff
	s_mov_b64 s[4:5], 0
	s_mov_b32 s19, 0x76543210
	s_mov_b32 s20, s7
	s_waitcnt vmcnt(3)
	v_lshrrev_b32_e32 v0, 16, v1
	v_and_b32_e32 v1, 0xffff, v1
	v_lshrrev_b32_e32 v5, 16, v2
	v_and_b32_e32 v2, 0xffff, v2
	;; [unrolled: 2-line block ×4, first 2 shown]
	s_waitcnt vmcnt(2)
	v_lshrrev_b32_e32 v29, 16, v21
	v_and_b32_e32 v30, 0xffff, v21
	v_lshrrev_b32_e32 v31, 16, v22
	v_and_b32_e32 v32, 0xffff, v22
	;; [unrolled: 2-line block ×4, first 2 shown]
	v_cvt_f32_u32_e32 v21, v0
	v_cvt_f32_u32_e32 v22, v1
	;; [unrolled: 1-line block ×16, first 2 shown]
	s_branch .LBB14_4
.LBB14_2:                               ;   in Loop: Header=BB14_4 Depth=1
	s_or_b32 exec_lo, exec_lo, s22
	s_waitcnt vmcnt(0) lgkmcnt(0)
	s_waitcnt_vscnt null, 0x0
	s_barrier
	buffer_gl0_inv
	ds_load_b32 v45, v19
	s_mul_i32 s22, s4, s18
	s_mul_hi_u32 s23, s4, s15
	s_mul_i32 s5, s5, s15
	s_add_i32 s22, s23, s22
	s_mul_i32 s4, s4, s15
	s_add_i32 s5, s22, s5
	s_delay_alu instid0(SALU_CYCLE_1) | instskip(NEXT) | instid1(SALU_CYCLE_1)
	s_lshl_b64 s[4:5], s[4:5], 1
	s_add_u32 s4, s14, s4
	s_addc_u32 s5, s1, s5
	s_delay_alu instid0(SALU_CYCLE_1) | instskip(SKIP_2) | instid1(VALU_DEP_1)
	s_and_b32 s5, s5, 0xffff
	s_waitcnt lgkmcnt(0)
	v_mov_b32_dpp v46, v45 quad_perm:[1,0,3,2] row_mask:0xf bank_mask:0xf
	v_add_f32_e32 v45, v45, v46
	s_delay_alu instid0(VALU_DEP_1) | instskip(NEXT) | instid1(VALU_DEP_1)
	v_mov_b32_dpp v46, v45 quad_perm:[2,3,0,1] row_mask:0xf bank_mask:0xf
	v_add_f32_e32 v45, v45, v46
	s_delay_alu instid0(VALU_DEP_1) | instskip(NEXT) | instid1(VALU_DEP_1)
	v_mov_b32_dpp v46, v45 row_xmask:7 row_mask:0xf bank_mask:0xf
	v_add_f32_e32 v45, v45, v46
	s_delay_alu instid0(VALU_DEP_1) | instskip(SKIP_1) | instid1(VALU_DEP_2)
	v_div_scale_f32 v46, null, v20, v20, v45
	v_div_scale_f32 v49, vcc_lo, v45, v20, v45
	v_rcp_f32_e32 v47, v46
	s_waitcnt_depctr 0xfff
	v_fma_f32 v48, -v46, v47, 1.0
	s_delay_alu instid0(VALU_DEP_1) | instskip(NEXT) | instid1(VALU_DEP_1)
	v_fmac_f32_e32 v47, v48, v47
	v_mul_f32_e32 v48, v49, v47
	s_delay_alu instid0(VALU_DEP_1) | instskip(NEXT) | instid1(VALU_DEP_1)
	v_fma_f32 v50, -v46, v48, v49
	v_fmac_f32_e32 v48, v50, v47
	s_delay_alu instid0(VALU_DEP_1) | instskip(NEXT) | instid1(VALU_DEP_1)
	v_fma_f32 v46, -v46, v48, v49
	v_div_fmas_f32 v46, v46, v47, v48
	s_delay_alu instid0(VALU_DEP_1) | instskip(NEXT) | instid1(VALU_DEP_1)
	v_div_fixup_f32 v45, v46, v20, v45
	v_add_f32_e32 v45, v16, v45
	s_delay_alu instid0(VALU_DEP_1) | instskip(SKIP_1) | instid1(VALU_DEP_2)
	v_mul_f32_e32 v46, 0x4b800000, v45
	v_cmp_gt_f32_e32 vcc_lo, 0x800000, v45
	v_cndmask_b32_e32 v45, v45, v46, vcc_lo
	s_delay_alu instid0(VALU_DEP_1) | instskip(SKIP_2) | instid1(VALU_DEP_1)
	v_rsq_f32_e32 v45, v45
	s_waitcnt_depctr 0xfff
	v_mul_f32_e32 v46, 0x45800000, v45
	v_cndmask_b32_e32 v45, v45, v46, vcc_lo
	s_delay_alu instid0(VALU_DEP_1) | instskip(NEXT) | instid1(VALU_DEP_1)
	v_mul_f32_e32 v12, v45, v12
	v_mul_f32_e32 v12, v12, v31
	;; [unrolled: 1-line block ×8, first 2 shown]
	v_dual_mul_f32 v40, v45, v40 :: v_dual_mul_f32 v15, v15, v35
	v_mul_f32_e32 v39, v45, v39
	v_mul_f32_e32 v8, v45, v8
	;; [unrolled: 1-line block ×3, first 2 shown]
	v_dual_mul_f32 v42, v45, v42 :: v_dual_mul_f32 v47, v11, v32
	v_mul_f32_e32 v37, v45, v37
	v_mul_f32_e32 v13, v45, v13
	;; [unrolled: 1-line block ×3, first 2 shown]
	s_delay_alu instid0(VALU_DEP_4)
	v_dual_mul_f32 v42, v42, v36 :: v_dual_mul_f32 v9, v45, v9
	v_mul_f32_e32 v40, v40, v26
	v_dual_mul_f32 v44, v45, v44 :: v_dual_mul_f32 v39, v39, v23
	v_dual_mul_f32 v8, v8, v22 :: v_dual_mul_f32 v37, v37, v21
	v_mul_f32_e32 v41, v41, v25
	v_mul_f32_e32 v43, v43, v28
	;; [unrolled: 1-line block ×3, first 2 shown]
	v_dual_mul_f32 v44, v44, v27 :: v_dual_mul_f32 v45, v9, v30
	v_dual_mul_f32 v46, v10, v29 :: v_dual_mul_f32 v13, v13, v34
	v_perm_b32 v10, v41, v40, 0x7060302
	s_delay_alu instid0(VALU_DEP_3)
	v_perm_b32 v11, v44, v43, 0x7060302
	v_perm_b32 v9, v39, v38, 0x7060302
	;; [unrolled: 1-line block ×7, first 2 shown]
	buffer_store_b128 v[8:11], v17, s[4:7], 0 offen
	;;#ASMSTART
	s_nop 0
	;;#ASMEND
	buffer_store_b128 v[12:15], v17, s[4:7], s16 offen
	;;#ASMSTART
	s_nop 0
	;;#ASMEND
.LBB14_3:                               ;   in Loop: Header=BB14_4 Depth=1
	s_delay_alu instid0(VALU_DEP_1) | instskip(NEXT) | instid1(VALU_DEP_3)
	v_dual_mov_b32 v15, v7 :: v_dual_mov_b32 v14, v6
	v_dual_mov_b32 v13, v5 :: v_dual_mov_b32 v12, v4
	;; [unrolled: 1-line block ×4, first 2 shown]
	s_and_b32 s20, s21, s20
	s_mov_b64 s[4:5], 1
	s_and_b32 vcc_lo, exec_lo, s20
	s_mov_b32 s20, 0
	s_cbranch_vccz .LBB14_10
.LBB14_4:                               ; =>This Inner Loop Header: Depth=1
	s_or_b64 s[4:5], s[2:3], s[4:5]
	s_delay_alu instid0(SALU_CYCLE_1) | instskip(SKIP_1) | instid1(VALU_DEP_2)
	v_cmp_ge_i64_e64 s22, s[4:5], s[12:13]
	v_cmp_lt_i64_e64 s21, s[4:5], s[12:13]
	s_and_b32 vcc_lo, exec_lo, s22
	s_cbranch_vccnz .LBB14_9
; %bb.5:                                ;   in Loop: Header=BB14_4 Depth=1
	s_waitcnt vmcnt(0)
	v_dual_mov_b32 v0, v8 :: v_dual_mov_b32 v1, v9
	v_dual_mov_b32 v2, v10 :: v_dual_mov_b32 v3, v11
	;; [unrolled: 1-line block ×4, first 2 shown]
	s_and_b32 s22, s20, s17
	s_delay_alu instid0(SALU_CYCLE_1)
	s_and_not1_b32 vcc_lo, exec_lo, s22
	s_cbranch_vccnz .LBB14_7
; %bb.6:                                ;   in Loop: Header=BB14_4 Depth=1
	s_clause 0x1
	buffer_load_b128 v[0:3], v17, s[8:11], 0 offen glc slc
	buffer_load_b128 v[4:7], v17, s[8:11], s16 offen glc slc
.LBB14_7:                               ;   in Loop: Header=BB14_4 Depth=1
	v_and_b32_e32 v37, 0xffff0000, v8
	v_lshlrev_b32_e32 v8, 16, v8
	v_and_b32_e32 v39, 0xffff0000, v9
	v_and_b32_e32 v41, 0xffff0000, v10
	v_lshlrev_b32_e32 v43, 16, v11
	v_mul_f32_e32 v45, v37, v37
	v_lshlrev_b32_e32 v38, 16, v9
	v_lshlrev_b32_e32 v9, 16, v12
	v_and_b32_e32 v44, 0xffff0000, v11
	v_lshlrev_b32_e32 v11, 16, v13
	v_dual_fmac_f32 v45, v8, v8 :: v_dual_lshlrev_b32 v42, 16, v15
	v_and_b32_e32 v15, 0xffff0000, v15
	s_delay_alu instid0(VALU_DEP_2)
	v_fmac_f32_e32 v45, v38, v38
	v_lshlrev_b32_e32 v40, 16, v10
	v_and_b32_e32 v10, 0xffff0000, v12
	v_and_b32_e32 v12, 0xffff0000, v13
	v_lshlrev_b32_e32 v13, 16, v14
	v_dual_fmac_f32 v45, v39, v39 :: v_dual_and_b32 v14, 0xffff0000, v14
	s_delay_alu instid0(VALU_DEP_1) | instskip(NEXT) | instid1(VALU_DEP_1)
	v_fmac_f32_e32 v45, v40, v40
	v_fmac_f32_e32 v45, v41, v41
	s_delay_alu instid0(VALU_DEP_1) | instskip(NEXT) | instid1(VALU_DEP_1)
	v_fmac_f32_e32 v45, v43, v43
	v_fmac_f32_e32 v45, v44, v44
	;; [unrolled: 3-line block ×6, first 2 shown]
	s_delay_alu instid0(VALU_DEP_1) | instskip(NEXT) | instid1(VALU_DEP_1)
	v_mov_b32_dpp v46, v45 quad_perm:[1,0,3,2] row_mask:0xf bank_mask:0xf
	v_add_f32_e32 v45, v45, v46
	s_delay_alu instid0(VALU_DEP_1) | instskip(NEXT) | instid1(VALU_DEP_1)
	v_mov_b32_dpp v46, v45 quad_perm:[2,3,0,1] row_mask:0xf bank_mask:0xf
	v_add_f32_e32 v45, v45, v46
	s_delay_alu instid0(VALU_DEP_1) | instskip(NEXT) | instid1(VALU_DEP_1)
	v_mov_b32_dpp v46, v45 row_xmask:7 row_mask:0xf bank_mask:0xf
	v_add_f32_e32 v45, v45, v46
	s_delay_alu instid0(VALU_DEP_1)
	v_mov_b32_dpp v46, v45 row_xmask:15 row_mask:0xf bank_mask:0xf
	s_and_saveexec_b32 s22, s0
	s_cbranch_execz .LBB14_2
; %bb.8:                                ;   in Loop: Header=BB14_4 Depth=1
	s_delay_alu instid0(VALU_DEP_1) | instskip(NEXT) | instid1(VALU_DEP_1)
	v_add_f32_e32 v45, v45, v46
	v_permlanex16_b32 v46, v45, s19, 0xfedcba98 op_sel:[1,1]
	s_delay_alu instid0(VALU_DEP_1)
	v_add_f32_e32 v45, v45, v46
	ds_store_b32 v18, v45
	s_branch .LBB14_2
.LBB14_9:                               ;   in Loop: Header=BB14_4 Depth=1
	s_waitcnt vmcnt(0)
	v_dual_mov_b32 v0, v8 :: v_dual_mov_b32 v1, v9
	v_dual_mov_b32 v2, v10 :: v_dual_mov_b32 v3, v11
	;; [unrolled: 1-line block ×4, first 2 shown]
	s_branch .LBB14_3
.LBB14_10:
	s_nop 0
	s_sendmsg sendmsg(MSG_DEALLOC_VGPRS)
	s_endpgm
	.section	.rodata,"a",@progbits
	.p2align	6, 0x0
	.amdhsa_kernel _ZN5aiter23fused_qk_rmsnorm_kernelItLi256ELi16ELb1ELi2EEEvPT_S2_PKS1_S4_S4_S4_ffiiiiiii
		.amdhsa_group_segment_fixed_size 32
		.amdhsa_private_segment_fixed_size 0
		.amdhsa_kernarg_size 84
		.amdhsa_user_sgpr_count 14
		.amdhsa_user_sgpr_dispatch_ptr 0
		.amdhsa_user_sgpr_queue_ptr 0
		.amdhsa_user_sgpr_kernarg_segment_ptr 1
		.amdhsa_user_sgpr_dispatch_id 0
		.amdhsa_user_sgpr_private_segment_size 0
		.amdhsa_wavefront_size32 1
		.amdhsa_uses_dynamic_stack 0
		.amdhsa_enable_private_segment 0
		.amdhsa_system_sgpr_workgroup_id_x 1
		.amdhsa_system_sgpr_workgroup_id_y 1
		.amdhsa_system_sgpr_workgroup_id_z 0
		.amdhsa_system_sgpr_workgroup_info 0
		.amdhsa_system_vgpr_workitem_id 0
		.amdhsa_next_free_vgpr 51
		.amdhsa_next_free_sgpr 31
		.amdhsa_reserve_vcc 1
		.amdhsa_float_round_mode_32 0
		.amdhsa_float_round_mode_16_64 0
		.amdhsa_float_denorm_mode_32 3
		.amdhsa_float_denorm_mode_16_64 3
		.amdhsa_dx10_clamp 1
		.amdhsa_ieee_mode 1
		.amdhsa_fp16_overflow 0
		.amdhsa_workgroup_processor_mode 1
		.amdhsa_memory_ordered 1
		.amdhsa_forward_progress 0
		.amdhsa_shared_vgpr_count 0
		.amdhsa_exception_fp_ieee_invalid_op 0
		.amdhsa_exception_fp_denorm_src 0
		.amdhsa_exception_fp_ieee_div_zero 0
		.amdhsa_exception_fp_ieee_overflow 0
		.amdhsa_exception_fp_ieee_underflow 0
		.amdhsa_exception_fp_ieee_inexact 0
		.amdhsa_exception_int_div_zero 0
	.end_amdhsa_kernel
	.section	.text._ZN5aiter23fused_qk_rmsnorm_kernelItLi256ELi16ELb1ELi2EEEvPT_S2_PKS1_S4_S4_S4_ffiiiiiii,"axG",@progbits,_ZN5aiter23fused_qk_rmsnorm_kernelItLi256ELi16ELb1ELi2EEEvPT_S2_PKS1_S4_S4_S4_ffiiiiiii,comdat
.Lfunc_end14:
	.size	_ZN5aiter23fused_qk_rmsnorm_kernelItLi256ELi16ELb1ELi2EEEvPT_S2_PKS1_S4_S4_S4_ffiiiiiii, .Lfunc_end14-_ZN5aiter23fused_qk_rmsnorm_kernelItLi256ELi16ELb1ELi2EEEvPT_S2_PKS1_S4_S4_S4_ffiiiiiii
                                        ; -- End function
	.section	.AMDGPU.csdata,"",@progbits
; Kernel info:
; codeLenInByte = 1656
; NumSgprs: 33
; NumVgprs: 51
; ScratchSize: 0
; MemoryBound: 0
; FloatMode: 240
; IeeeMode: 1
; LDSByteSize: 32 bytes/workgroup (compile time only)
; SGPRBlocks: 4
; VGPRBlocks: 6
; NumSGPRsForWavesPerEU: 33
; NumVGPRsForWavesPerEU: 51
; Occupancy: 16
; WaveLimiterHint : 0
; COMPUTE_PGM_RSRC2:SCRATCH_EN: 0
; COMPUTE_PGM_RSRC2:USER_SGPR: 14
; COMPUTE_PGM_RSRC2:TRAP_HANDLER: 0
; COMPUTE_PGM_RSRC2:TGID_X_EN: 1
; COMPUTE_PGM_RSRC2:TGID_Y_EN: 1
; COMPUTE_PGM_RSRC2:TGID_Z_EN: 0
; COMPUTE_PGM_RSRC2:TIDIG_COMP_CNT: 0
	.section	.text._ZN5aiter23fused_qk_rmsnorm_kernelIDF16_Li256ELi16ELb1ELi1EEEvPT_S2_PKS1_S4_S4_S4_ffiiiiiii,"axG",@progbits,_ZN5aiter23fused_qk_rmsnorm_kernelIDF16_Li256ELi16ELb1ELi1EEEvPT_S2_PKS1_S4_S4_S4_ffiiiiiii,comdat
	.protected	_ZN5aiter23fused_qk_rmsnorm_kernelIDF16_Li256ELi16ELb1ELi1EEEvPT_S2_PKS1_S4_S4_S4_ffiiiiiii ; -- Begin function _ZN5aiter23fused_qk_rmsnorm_kernelIDF16_Li256ELi16ELb1ELi1EEEvPT_S2_PKS1_S4_S4_S4_ffiiiiiii
	.globl	_ZN5aiter23fused_qk_rmsnorm_kernelIDF16_Li256ELi16ELb1ELi1EEEvPT_S2_PKS1_S4_S4_S4_ffiiiiiii
	.p2align	8
	.type	_ZN5aiter23fused_qk_rmsnorm_kernelIDF16_Li256ELi16ELb1ELi1EEEvPT_S2_PKS1_S4_S4_S4_ffiiiiiii,@function
_ZN5aiter23fused_qk_rmsnorm_kernelIDF16_Li256ELi16ELb1ELi1EEEvPT_S2_PKS1_S4_S4_S4_ffiiiiiii: ; @_ZN5aiter23fused_qk_rmsnorm_kernelIDF16_Li256ELi16ELb1ELi1EEEvPT_S2_PKS1_S4_S4_S4_ffiiiiiii
; %bb.0:
	s_load_b256 s[4:11], s[0:1], 0x30
	s_mov_b32 s2, s15
	s_mov_b32 s15, 0
	s_waitcnt lgkmcnt(0)
	s_ashr_i32 s13, s6, 31
	s_mov_b32 s12, s6
	s_delay_alu instid0(SALU_CYCLE_1) | instskip(NEXT) | instid1(VALU_DEP_1)
	v_cmp_ge_i64_e64 s3, s[14:15], s[12:13]
	s_and_b32 vcc_lo, exec_lo, s3
	s_cbranch_vccnz .LBB15_4
; %bb.1:
	s_clause 0x1
	s_load_b256 s[16:23], s[0:1], 0x0
	s_load_b128 s[24:27], s[0:1], 0x20
	s_cmp_eq_u32 s2, 0
	s_load_b32 s1, s[0:1], 0x50
	s_cselect_b32 s2, -1, 0
	v_lshlrev_b32_e32 v1, 5, v0
	s_and_b32 s0, s2, exec_lo
	s_cselect_b32 s0, s9, s10
	s_cselect_b32 s3, s7, s8
	s_mul_hi_u32 s7, s0, s14
	v_lshlrev_b32_e32 v2, 4, v0
	v_and_b32_e32 v1, 0x7c00, v1
	s_delay_alu instid0(VALU_DEP_1)
	v_and_or_b32 v9, 0x1f0, v2, v1
	s_waitcnt lgkmcnt(0)
	s_cselect_b32 s8, s21, s23
	s_cselect_b32 s9, s20, s22
	;; [unrolled: 1-line block ×4, first 2 shown]
	s_ashr_i32 s6, s0, 31
	s_mov_b32 s23, -1
	s_mul_i32 s12, s6, s14
	s_mul_i32 s6, s0, s14
	s_add_i32 s7, s7, s12
	s_mov_b32 s27, s23
	s_lshl_b64 s[6:7], s[6:7], 1
	s_delay_alu instid0(SALU_CYCLE_1)
	s_add_u32 s24, s9, s6
	s_addc_u32 s0, s8, s7
	s_add_i32 s6, s3, 1
	s_and_b32 s25, s0, 0xffff
	s_lshr_b32 s7, s6, 31
	s_movk_i32 s0, 0x200
	s_add_i32 s6, s6, s7
	s_and_b32 s21, s10, 0xffff
	s_lshl_b32 s6, s6, 1
	s_delay_alu instid0(SALU_CYCLE_1)
	s_and_b32 s22, s6, -4
	s_mov_b32 s6, exec_lo
	s_mov_b32 s26, s22
	s_clause 0x1
	buffer_load_b128 v[11:14], v9, s[24:27], 0 offen glc slc
	buffer_load_b128 v[23:26], v9, s[24:27], s0 offen glc slc
	s_clause 0x1
	buffer_load_b128 v[5:8], v9, s[20:23], 0 offen
	buffer_load_b128 v[1:4], v9, s[20:23], s0 offen
	s_waitcnt vmcnt(3)
	v_lshrrev_b32_e32 v10, 16, v11
	v_cvt_f32_f16_e32 v22, v11
	v_cvt_f32_f16_e32 v20, v13
	v_lshrrev_b32_e32 v17, 16, v14
	s_waitcnt vmcnt(2)
	v_lshrrev_b32_e32 v21, 16, v23
	v_cvt_f32_f16_e32 v10, v10
	v_lshrrev_b32_e32 v29, 16, v24
	v_lshrrev_b32_e32 v30, 16, v25
	;; [unrolled: 1-line block ×3, first 2 shown]
	v_cvt_f32_f16_e32 v19, v12
	v_mul_f32_e32 v15, v10, v10
	v_cvt_f32_f16_e32 v18, v14
	v_cvt_f32_f16_e32 v21, v21
	s_delay_alu instid0(VALU_DEP_3) | instskip(NEXT) | instid1(VALU_DEP_1)
	v_fma_mix_f32 v15, v11, v11, v15 op_sel_hi:[1,1,0]
	v_fma_mix_f32 v15, v12, v12, v15 op_sel_hi:[1,1,0]
	s_delay_alu instid0(VALU_DEP_1) | instskip(NEXT) | instid1(VALU_DEP_1)
	v_fma_mix_f32 v15, v12, v12, v15 op_sel:[1,1,0] op_sel_hi:[1,1,0]
	v_fma_mix_f32 v15, v13, v13, v15 op_sel_hi:[1,1,0]
	s_delay_alu instid0(VALU_DEP_1) | instskip(NEXT) | instid1(VALU_DEP_1)
	v_fma_mix_f32 v15, v13, v13, v15 op_sel:[1,1,0] op_sel_hi:[1,1,0]
	v_fma_mix_f32 v15, v14, v14, v15 op_sel_hi:[1,1,0]
	s_delay_alu instid0(VALU_DEP_1) | instskip(SKIP_1) | instid1(VALU_DEP_2)
	v_fma_mix_f32 v15, v14, v14, v15 op_sel:[1,1,0] op_sel_hi:[1,1,0]
	v_cvt_f32_f16_e32 v14, v23
	v_fma_mix_f32 v15, v23, v23, v15 op_sel_hi:[1,1,0]
	s_delay_alu instid0(VALU_DEP_1) | instskip(SKIP_2) | instid1(VALU_DEP_3)
	v_fma_mix_f32 v15, v23, v23, v15 op_sel:[1,1,0] op_sel_hi:[1,1,0]
	v_cvt_f32_f16_e32 v23, v17
	v_cvt_f32_f16_e32 v17, v29
	v_fma_mix_f32 v15, v24, v24, v15 op_sel_hi:[1,1,0]
	s_delay_alu instid0(VALU_DEP_1) | instskip(NEXT) | instid1(VALU_DEP_1)
	v_fma_mix_f32 v15, v24, v24, v15 op_sel:[1,1,0] op_sel_hi:[1,1,0]
	v_fma_mix_f32 v15, v25, v25, v15 op_sel_hi:[1,1,0]
	s_delay_alu instid0(VALU_DEP_1) | instskip(NEXT) | instid1(VALU_DEP_1)
	v_fma_mix_f32 v15, v25, v25, v15 op_sel:[1,1,0] op_sel_hi:[1,1,0]
	;; [unrolled: 3-line block ×3, first 2 shown]
	v_mov_b32_dpp v16, v15 quad_perm:[1,0,3,2] row_mask:0xf bank_mask:0xf
	s_delay_alu instid0(VALU_DEP_1) | instskip(SKIP_3) | instid1(VALU_DEP_4)
	v_add_f32_e32 v11, v15, v16
	v_lshrrev_b32_e32 v16, 16, v13
	v_lshrrev_b32_e32 v15, 16, v12
	v_cvt_f32_f16_e32 v12, v24
	v_mov_b32_dpp v13, v11 quad_perm:[2,3,0,1] row_mask:0xf bank_mask:0xf
	v_and_b32_e32 v28, 31, v0
	v_cvt_f32_f16_e32 v24, v16
	v_cvt_f32_f16_e32 v16, v30
	s_delay_alu instid0(VALU_DEP_4)
	v_add_f32_e32 v27, v11, v13
	v_cvt_f32_f16_e32 v11, v26
	v_cvt_f32_f16_e32 v13, v25
	v_cvt_f32_f16_e32 v25, v15
	v_cvt_f32_f16_e32 v15, v32
	v_mov_b32_dpp v31, v27 row_xmask:7 row_mask:0xf bank_mask:0xf
	s_delay_alu instid0(VALU_DEP_1) | instskip(NEXT) | instid1(VALU_DEP_1)
	v_add_f32_e32 v26, v27, v31
	v_mov_b32_dpp v27, v26 row_xmask:15 row_mask:0xf bank_mask:0xf
	v_cmpx_eq_u32_e32 31, v28
	s_cbranch_execz .LBB15_3
; %bb.2:
	v_lshrrev_b32_e32 v28, 3, v0
	s_delay_alu instid0(VALU_DEP_3)
	v_add_f32_e32 v26, v26, v27
	s_mov_b32 s7, 0x76543210
	s_delay_alu instid0(VALU_DEP_1) | instid1(SALU_CYCLE_1)
	v_permlanex16_b32 v27, v26, s7, 0xfedcba98 op_sel:[1,1]
	s_delay_alu instid0(VALU_DEP_1)
	v_dual_add_f32 v26, v26, v27 :: v_dual_and_b32 v27, 0x7c, v28
	ds_store_b32 v27, v26
.LBB15_3:
	s_or_b32 exec_lo, exec_lo, s6
	v_and_b32_e32 v0, 7, v0
	s_waitcnt vmcnt(0) lgkmcnt(0)
	s_barrier
	buffer_gl0_inv
	v_cvt_f32_i32_e32 v27, s3
	v_lshlrev_b32_e32 v0, 2, v0
	ds_load_b32 v0, v0
	s_waitcnt lgkmcnt(0)
	v_mov_b32_dpp v26, v0 quad_perm:[1,0,3,2] row_mask:0xf bank_mask:0xf
	s_delay_alu instid0(VALU_DEP_1) | instskip(NEXT) | instid1(VALU_DEP_1)
	v_add_f32_e32 v0, v0, v26
	v_mov_b32_dpp v26, v0 quad_perm:[2,3,0,1] row_mask:0xf bank_mask:0xf
	s_delay_alu instid0(VALU_DEP_1) | instskip(NEXT) | instid1(VALU_DEP_1)
	v_add_f32_e32 v0, v0, v26
	v_mov_b32_dpp v26, v0 row_xmask:7 row_mask:0xf bank_mask:0xf
	s_delay_alu instid0(VALU_DEP_1) | instskip(NEXT) | instid1(VALU_DEP_1)
	v_add_f32_e32 v0, v0, v26
	v_div_scale_f32 v26, null, v27, v27, v0
	v_div_scale_f32 v30, vcc_lo, v0, v27, v0
	s_delay_alu instid0(VALU_DEP_2) | instskip(SKIP_2) | instid1(VALU_DEP_1)
	v_rcp_f32_e32 v28, v26
	s_waitcnt_depctr 0xfff
	v_fma_f32 v29, -v26, v28, 1.0
	v_fmac_f32_e32 v28, v29, v28
	s_delay_alu instid0(VALU_DEP_1) | instskip(NEXT) | instid1(VALU_DEP_1)
	v_mul_f32_e32 v29, v30, v28
	v_fma_f32 v31, -v26, v29, v30
	s_delay_alu instid0(VALU_DEP_1) | instskip(NEXT) | instid1(VALU_DEP_1)
	v_fmac_f32_e32 v29, v31, v28
	v_fma_f32 v26, -v26, v29, v30
	v_mov_b32_e32 v30, s4
	s_delay_alu instid0(VALU_DEP_2) | instskip(NEXT) | instid1(VALU_DEP_2)
	v_div_fmas_f32 v26, v26, v28, v29
	v_cndmask_b32_e64 v28, s5, v30, s2
	s_and_b32 s2, s2, exec_lo
	s_cselect_b32 s1, s11, s1
	s_cselect_b32 s4, s17, s19
	v_div_fixup_f32 v0, v26, v27, v0
	s_cselect_b32 s5, s16, s18
	s_ashr_i32 s2, s1, 31
	s_mul_hi_u32 s3, s1, s14
	s_mul_i32 s6, s2, s14
	v_add_f32_e32 v0, v28, v0
	s_mul_i32 s2, s1, s14
	s_add_i32 s3, s3, s6
	s_delay_alu instid0(SALU_CYCLE_1) | instskip(NEXT) | instid1(VALU_DEP_1)
	s_lshl_b64 s[2:3], s[2:3], 1
	v_mul_f32_e32 v26, 0x4b800000, v0
	v_cmp_gt_f32_e32 vcc_lo, 0x800000, v0
	s_add_u32 s20, s5, s2
	s_addc_u32 s1, s4, s3
	s_delay_alu instid0(SALU_CYCLE_1) | instskip(SKIP_1) | instid1(VALU_DEP_1)
	s_and_b32 s21, s1, 0xffff
	v_cndmask_b32_e32 v0, v0, v26, vcc_lo
	v_rsq_f32_e32 v0, v0
	s_waitcnt_depctr 0xfff
	v_mul_f32_e32 v26, 0x45800000, v0
	s_delay_alu instid0(VALU_DEP_1) | instskip(NEXT) | instid1(VALU_DEP_1)
	v_cndmask_b32_e32 v0, v0, v26, vcc_lo
	v_mul_f32_e32 v26, v0, v10
	v_mul_f32_e32 v10, v0, v22
	;; [unrolled: 1-line block ×16, first 2 shown]
	v_fma_mixlo_f16 v10, v10, v5, 0 op_sel_hi:[0,1,0]
	v_fma_mixlo_f16 v11, v19, v6, 0 op_sel_hi:[0,1,0]
	;; [unrolled: 1-line block ×8, first 2 shown]
	v_fma_mixhi_f16 v13, v23, v8, 0 op_sel:[0,1,0] op_sel_hi:[0,1,0]
	v_fma_mixhi_f16 v12, v24, v7, 0 op_sel:[0,1,0] op_sel_hi:[0,1,0]
	;; [unrolled: 1-line block ×8, first 2 shown]
	buffer_store_b128 v[10:13], v9, s[20:23], 0 offen
	;;#ASMSTART
	s_nop 0
	;;#ASMEND
	buffer_store_b128 v[14:17], v9, s[20:23], s0 offen
	;;#ASMSTART
	s_nop 0
	;;#ASMEND
.LBB15_4:
	s_nop 0
	s_sendmsg sendmsg(MSG_DEALLOC_VGPRS)
	s_endpgm
	.section	.rodata,"a",@progbits
	.p2align	6, 0x0
	.amdhsa_kernel _ZN5aiter23fused_qk_rmsnorm_kernelIDF16_Li256ELi16ELb1ELi1EEEvPT_S2_PKS1_S4_S4_S4_ffiiiiiii
		.amdhsa_group_segment_fixed_size 32
		.amdhsa_private_segment_fixed_size 0
		.amdhsa_kernarg_size 84
		.amdhsa_user_sgpr_count 14
		.amdhsa_user_sgpr_dispatch_ptr 0
		.amdhsa_user_sgpr_queue_ptr 0
		.amdhsa_user_sgpr_kernarg_segment_ptr 1
		.amdhsa_user_sgpr_dispatch_id 0
		.amdhsa_user_sgpr_private_segment_size 0
		.amdhsa_wavefront_size32 1
		.amdhsa_uses_dynamic_stack 0
		.amdhsa_enable_private_segment 0
		.amdhsa_system_sgpr_workgroup_id_x 1
		.amdhsa_system_sgpr_workgroup_id_y 1
		.amdhsa_system_sgpr_workgroup_id_z 0
		.amdhsa_system_sgpr_workgroup_info 0
		.amdhsa_system_vgpr_workitem_id 0
		.amdhsa_next_free_vgpr 33
		.amdhsa_next_free_sgpr 28
		.amdhsa_reserve_vcc 1
		.amdhsa_float_round_mode_32 0
		.amdhsa_float_round_mode_16_64 0
		.amdhsa_float_denorm_mode_32 3
		.amdhsa_float_denorm_mode_16_64 3
		.amdhsa_dx10_clamp 1
		.amdhsa_ieee_mode 1
		.amdhsa_fp16_overflow 0
		.amdhsa_workgroup_processor_mode 1
		.amdhsa_memory_ordered 1
		.amdhsa_forward_progress 0
		.amdhsa_shared_vgpr_count 0
		.amdhsa_exception_fp_ieee_invalid_op 0
		.amdhsa_exception_fp_denorm_src 0
		.amdhsa_exception_fp_ieee_div_zero 0
		.amdhsa_exception_fp_ieee_overflow 0
		.amdhsa_exception_fp_ieee_underflow 0
		.amdhsa_exception_fp_ieee_inexact 0
		.amdhsa_exception_int_div_zero 0
	.end_amdhsa_kernel
	.section	.text._ZN5aiter23fused_qk_rmsnorm_kernelIDF16_Li256ELi16ELb1ELi1EEEvPT_S2_PKS1_S4_S4_S4_ffiiiiiii,"axG",@progbits,_ZN5aiter23fused_qk_rmsnorm_kernelIDF16_Li256ELi16ELb1ELi1EEEvPT_S2_PKS1_S4_S4_S4_ffiiiiiii,comdat
.Lfunc_end15:
	.size	_ZN5aiter23fused_qk_rmsnorm_kernelIDF16_Li256ELi16ELb1ELi1EEEvPT_S2_PKS1_S4_S4_S4_ffiiiiiii, .Lfunc_end15-_ZN5aiter23fused_qk_rmsnorm_kernelIDF16_Li256ELi16ELb1ELi1EEEvPT_S2_PKS1_S4_S4_S4_ffiiiiiii
                                        ; -- End function
	.section	.AMDGPU.csdata,"",@progbits
; Kernel info:
; codeLenInByte = 1240
; NumSgprs: 30
; NumVgprs: 33
; ScratchSize: 0
; MemoryBound: 0
; FloatMode: 240
; IeeeMode: 1
; LDSByteSize: 32 bytes/workgroup (compile time only)
; SGPRBlocks: 3
; VGPRBlocks: 4
; NumSGPRsForWavesPerEU: 30
; NumVGPRsForWavesPerEU: 33
; Occupancy: 16
; WaveLimiterHint : 0
; COMPUTE_PGM_RSRC2:SCRATCH_EN: 0
; COMPUTE_PGM_RSRC2:USER_SGPR: 14
; COMPUTE_PGM_RSRC2:TRAP_HANDLER: 0
; COMPUTE_PGM_RSRC2:TGID_X_EN: 1
; COMPUTE_PGM_RSRC2:TGID_Y_EN: 1
; COMPUTE_PGM_RSRC2:TGID_Z_EN: 0
; COMPUTE_PGM_RSRC2:TIDIG_COMP_CNT: 0
	.section	.text._ZN5aiter23fused_qk_rmsnorm_kernelItLi256ELi16ELb1ELi1EEEvPT_S2_PKS1_S4_S4_S4_ffiiiiiii,"axG",@progbits,_ZN5aiter23fused_qk_rmsnorm_kernelItLi256ELi16ELb1ELi1EEEvPT_S2_PKS1_S4_S4_S4_ffiiiiiii,comdat
	.protected	_ZN5aiter23fused_qk_rmsnorm_kernelItLi256ELi16ELb1ELi1EEEvPT_S2_PKS1_S4_S4_S4_ffiiiiiii ; -- Begin function _ZN5aiter23fused_qk_rmsnorm_kernelItLi256ELi16ELb1ELi1EEEvPT_S2_PKS1_S4_S4_S4_ffiiiiiii
	.globl	_ZN5aiter23fused_qk_rmsnorm_kernelItLi256ELi16ELb1ELi1EEEvPT_S2_PKS1_S4_S4_S4_ffiiiiiii
	.p2align	8
	.type	_ZN5aiter23fused_qk_rmsnorm_kernelItLi256ELi16ELb1ELi1EEEvPT_S2_PKS1_S4_S4_S4_ffiiiiiii,@function
_ZN5aiter23fused_qk_rmsnorm_kernelItLi256ELi16ELb1ELi1EEEvPT_S2_PKS1_S4_S4_S4_ffiiiiiii: ; @_ZN5aiter23fused_qk_rmsnorm_kernelItLi256ELi16ELb1ELi1EEEvPT_S2_PKS1_S4_S4_S4_ffiiiiiii
; %bb.0:
	s_load_b256 s[4:11], s[0:1], 0x30
	s_mov_b32 s2, s15
	s_mov_b32 s15, 0
	s_waitcnt lgkmcnt(0)
	s_ashr_i32 s13, s6, 31
	s_mov_b32 s12, s6
	s_delay_alu instid0(SALU_CYCLE_1) | instskip(NEXT) | instid1(VALU_DEP_1)
	v_cmp_ge_i64_e64 s3, s[14:15], s[12:13]
	s_and_b32 vcc_lo, exec_lo, s3
	s_cbranch_vccnz .LBB16_4
; %bb.1:
	s_clause 0x1
	s_load_b256 s[16:23], s[0:1], 0x0
	s_load_b128 s[24:27], s[0:1], 0x20
	s_cmp_eq_u32 s2, 0
	s_load_b32 s1, s[0:1], 0x50
	s_cselect_b32 s2, -1, 0
	v_lshlrev_b32_e32 v1, 5, v0
	s_and_b32 s0, s2, exec_lo
	s_cselect_b32 s0, s9, s10
	s_cselect_b32 s3, s7, s8
	s_mul_hi_u32 s7, s0, s14
	v_lshlrev_b32_e32 v2, 4, v0
	v_and_b32_e32 v1, 0x7c00, v1
	v_and_b32_e32 v28, 31, v0
	s_delay_alu instid0(VALU_DEP_2)
	v_and_or_b32 v9, 0x1f0, v2, v1
	s_waitcnt lgkmcnt(0)
	s_cselect_b32 s8, s21, s23
	s_cselect_b32 s9, s20, s22
	;; [unrolled: 1-line block ×4, first 2 shown]
	s_ashr_i32 s6, s0, 31
	s_mov_b32 s23, -1
	s_mul_i32 s12, s6, s14
	s_mul_i32 s6, s0, s14
	s_add_i32 s7, s7, s12
	s_mov_b32 s27, s23
	s_lshl_b64 s[6:7], s[6:7], 1
	s_delay_alu instid0(SALU_CYCLE_1)
	s_add_u32 s24, s9, s6
	s_addc_u32 s0, s8, s7
	s_add_i32 s6, s3, 1
	s_and_b32 s25, s0, 0xffff
	s_lshr_b32 s7, s6, 31
	s_movk_i32 s0, 0x200
	s_add_i32 s6, s6, s7
	s_and_b32 s21, s10, 0xffff
	s_lshl_b32 s6, s6, 1
	s_delay_alu instid0(SALU_CYCLE_1)
	s_and_b32 s22, s6, -4
	s_mov_b32 s6, exec_lo
	s_mov_b32 s26, s22
	s_clause 0x1
	buffer_load_b128 v[14:17], v9, s[24:27], 0 offen glc slc
	buffer_load_b128 v[22:25], v9, s[24:27], s0 offen glc slc
	s_clause 0x1
	buffer_load_b128 v[5:8], v9, s[20:23], 0 offen
	buffer_load_b128 v[1:4], v9, s[20:23], s0 offen
	s_waitcnt vmcnt(3)
	v_and_b32_e32 v10, 0xffff0000, v14
	v_lshlrev_b32_e32 v12, 16, v15
	v_lshlrev_b32_e32 v11, 16, v14
	;; [unrolled: 1-line block ×3, first 2 shown]
	s_delay_alu instid0(VALU_DEP_4)
	v_dual_mul_f32 v26, v10, v10 :: v_dual_and_b32 v13, 0xffff0000, v15
	v_and_b32_e32 v16, 0xffff0000, v16
	v_lshlrev_b32_e32 v18, 16, v17
	v_and_b32_e32 v20, 0xffff0000, v17
	s_waitcnt vmcnt(2)
	v_dual_fmac_f32 v26, v11, v11 :: v_dual_lshlrev_b32 v15, 16, v22
	v_and_b32_e32 v17, 0xffff0000, v22
	v_lshlrev_b32_e32 v22, 16, v24
	v_lshlrev_b32_e32 v19, 16, v23
	s_delay_alu instid0(VALU_DEP_4) | instskip(SKIP_3) | instid1(VALU_DEP_4)
	v_dual_fmac_f32 v26, v12, v12 :: v_dual_and_b32 v21, 0xffff0000, v23
	v_and_b32_e32 v23, 0xffff0000, v24
	v_lshlrev_b32_e32 v24, 16, v25
	v_and_b32_e32 v25, 0xffff0000, v25
	v_fmac_f32_e32 v26, v13, v13
	s_delay_alu instid0(VALU_DEP_1) | instskip(NEXT) | instid1(VALU_DEP_1)
	v_fmac_f32_e32 v26, v14, v14
	v_fmac_f32_e32 v26, v16, v16
	s_delay_alu instid0(VALU_DEP_1) | instskip(NEXT) | instid1(VALU_DEP_1)
	v_fmac_f32_e32 v26, v18, v18
	v_fmac_f32_e32 v26, v20, v20
	s_delay_alu instid0(VALU_DEP_1) | instskip(NEXT) | instid1(VALU_DEP_1)
	v_fmac_f32_e32 v26, v15, v15
	v_fmac_f32_e32 v26, v17, v17
	s_delay_alu instid0(VALU_DEP_1) | instskip(NEXT) | instid1(VALU_DEP_1)
	v_fmac_f32_e32 v26, v19, v19
	v_fmac_f32_e32 v26, v21, v21
	s_delay_alu instid0(VALU_DEP_1) | instskip(NEXT) | instid1(VALU_DEP_1)
	v_fmac_f32_e32 v26, v22, v22
	v_fmac_f32_e32 v26, v23, v23
	s_delay_alu instid0(VALU_DEP_1) | instskip(NEXT) | instid1(VALU_DEP_1)
	v_fmac_f32_e32 v26, v24, v24
	v_fmac_f32_e32 v26, v25, v25
	s_delay_alu instid0(VALU_DEP_1) | instskip(NEXT) | instid1(VALU_DEP_1)
	v_mov_b32_dpp v27, v26 quad_perm:[1,0,3,2] row_mask:0xf bank_mask:0xf
	v_add_f32_e32 v26, v26, v27
	s_delay_alu instid0(VALU_DEP_1) | instskip(NEXT) | instid1(VALU_DEP_1)
	v_mov_b32_dpp v27, v26 quad_perm:[2,3,0,1] row_mask:0xf bank_mask:0xf
	v_add_f32_e32 v26, v26, v27
	s_delay_alu instid0(VALU_DEP_1) | instskip(NEXT) | instid1(VALU_DEP_1)
	v_mov_b32_dpp v27, v26 row_xmask:7 row_mask:0xf bank_mask:0xf
	v_add_f32_e32 v26, v26, v27
	s_delay_alu instid0(VALU_DEP_1)
	v_mov_b32_dpp v27, v26 row_xmask:15 row_mask:0xf bank_mask:0xf
	v_cmpx_eq_u32_e32 31, v28
	s_cbranch_execz .LBB16_3
; %bb.2:
	v_lshrrev_b32_e32 v28, 3, v0
	s_delay_alu instid0(VALU_DEP_3)
	v_add_f32_e32 v26, v26, v27
	s_mov_b32 s7, 0x76543210
	s_delay_alu instid0(VALU_DEP_1) | instid1(SALU_CYCLE_1)
	v_permlanex16_b32 v27, v26, s7, 0xfedcba98 op_sel:[1,1]
	s_delay_alu instid0(VALU_DEP_1)
	v_dual_add_f32 v26, v26, v27 :: v_dual_and_b32 v27, 0x7c, v28
	ds_store_b32 v27, v26
.LBB16_3:
	s_or_b32 exec_lo, exec_lo, s6
	v_mov_b32_e32 v32, s4
	s_waitcnt vmcnt(1)
	v_lshrrev_b32_e32 v33, 16, v5
	v_and_b32_e32 v5, 0xffff, v5
	s_waitcnt vmcnt(0) lgkmcnt(0)
	s_barrier
	buffer_gl0_inv
	v_cvt_f32_i32_e32 v27, s3
	v_cvt_f32_u32_e32 v5, v5
	v_and_b32_e32 v0, 7, v0
	v_lshrrev_b32_e32 v34, 16, v7
	v_cndmask_b32_e64 v32, s5, v32, s2
	s_and_b32 s3, s2, exec_lo
	s_cselect_b32 s1, s11, s1
	v_lshlrev_b32_e32 v0, 2, v0
	s_cselect_b32 s4, s17, s19
	s_cselect_b32 s5, s16, s18
	s_ashr_i32 s3, s1, 31
	s_mul_hi_u32 s6, s1, s14
	ds_load_b32 v0, v0
	s_mul_i32 s3, s3, s14
	s_mul_i32 s2, s1, s14
	s_add_i32 s3, s6, s3
	v_and_b32_e32 v7, 0xffff, v7
	s_lshl_b64 s[2:3], s[2:3], 1
	s_delay_alu instid0(SALU_CYCLE_1) | instskip(SKIP_1) | instid1(VALU_DEP_1)
	s_add_u32 s20, s5, s2
	s_addc_u32 s1, s4, s3
	v_cvt_f32_u32_e32 v7, v7
	s_and_b32 s21, s1, 0xffff
	s_waitcnt lgkmcnt(0)
	v_mov_b32_dpp v26, v0 quad_perm:[1,0,3,2] row_mask:0xf bank_mask:0xf
	s_delay_alu instid0(VALU_DEP_1) | instskip(NEXT) | instid1(VALU_DEP_1)
	v_add_f32_e32 v0, v0, v26
	v_mov_b32_dpp v26, v0 quad_perm:[2,3,0,1] row_mask:0xf bank_mask:0xf
	s_delay_alu instid0(VALU_DEP_1) | instskip(NEXT) | instid1(VALU_DEP_1)
	v_add_f32_e32 v0, v0, v26
	v_mov_b32_dpp v26, v0 row_xmask:7 row_mask:0xf bank_mask:0xf
	s_delay_alu instid0(VALU_DEP_1) | instskip(NEXT) | instid1(VALU_DEP_1)
	v_add_f32_e32 v0, v0, v26
	v_div_scale_f32 v26, null, v27, v27, v0
	v_div_scale_f32 v30, vcc_lo, v0, v27, v0
	s_delay_alu instid0(VALU_DEP_2) | instskip(SKIP_2) | instid1(VALU_DEP_1)
	v_rcp_f32_e32 v28, v26
	s_waitcnt_depctr 0xfff
	v_fma_f32 v29, -v26, v28, 1.0
	v_fmac_f32_e32 v28, v29, v28
	s_delay_alu instid0(VALU_DEP_1) | instskip(NEXT) | instid1(VALU_DEP_1)
	v_mul_f32_e32 v29, v30, v28
	v_fma_f32 v31, -v26, v29, v30
	s_delay_alu instid0(VALU_DEP_1) | instskip(SKIP_1) | instid1(VALU_DEP_2)
	v_fmac_f32_e32 v29, v31, v28
	v_lshrrev_b32_e32 v31, 16, v6
	v_fma_f32 v26, -v26, v29, v30
	v_lshrrev_b32_e32 v30, 16, v8
	s_delay_alu instid0(VALU_DEP_3) | instskip(NEXT) | instid1(VALU_DEP_3)
	v_cvt_f32_u32_e32 v31, v31
	v_div_fmas_f32 v26, v26, v28, v29
	v_lshrrev_b32_e32 v28, 16, v1
	v_and_b32_e32 v1, 0xffff, v1
	v_lshrrev_b32_e32 v29, 16, v2
	v_cvt_f32_u32_e32 v30, v30
	v_div_fixup_f32 v0, v26, v27, v0
	v_lshrrev_b32_e32 v26, 16, v3
	v_and_b32_e32 v3, 0xffff, v3
	v_lshrrev_b32_e32 v27, 16, v4
	v_cvt_f32_u32_e32 v28, v28
	v_add_f32_e32 v0, v32, v0
	v_cvt_f32_u32_e32 v1, v1
	v_cvt_f32_u32_e32 v29, v29
	;; [unrolled: 1-line block ×4, first 2 shown]
	v_mul_f32_e32 v32, 0x4b800000, v0
	v_cmp_gt_f32_e32 vcc_lo, 0x800000, v0
	v_cvt_f32_u32_e32 v27, v27
	s_delay_alu instid0(VALU_DEP_3) | instskip(SKIP_2) | instid1(VALU_DEP_3)
	v_cndmask_b32_e32 v0, v0, v32, vcc_lo
	v_cvt_f32_u32_e32 v32, v33
	v_cvt_f32_u32_e32 v33, v34
	v_rsq_f32_e32 v0, v0
	s_waitcnt_depctr 0xfff
	v_mul_f32_e32 v34, 0x45800000, v0
	s_delay_alu instid0(VALU_DEP_1) | instskip(SKIP_3) | instid1(VALU_DEP_4)
	v_cndmask_b32_e32 v0, v0, v34, vcc_lo
	v_and_b32_e32 v6, 0xffff, v6
	v_and_b32_e32 v8, 0xffff, v8
	;; [unrolled: 1-line block ×3, first 2 shown]
	v_dual_mul_f32 v23, v0, v23 :: v_dual_and_b32 v4, 0xffff, v4
	v_mul_f32_e32 v18, v0, v18
	v_mul_f32_e32 v16, v0, v16
	;; [unrolled: 1-line block ×3, first 2 shown]
	s_delay_alu instid0(VALU_DEP_4)
	v_cvt_f32_u32_e32 v4, v4
	v_mul_f32_e32 v13, v0, v13
	v_cvt_f32_u32_e32 v6, v6
	v_mul_f32_e32 v12, v0, v12
	v_mul_f32_e32 v10, v0, v10
	v_mul_f32_e32 v11, v0, v11
	v_cvt_f32_u32_e32 v8, v8
	v_mul_f32_e32 v25, v0, v25
	v_cvt_f32_u32_e32 v2, v2
	v_mul_f32_e32 v24, v0, v24
	v_mul_f32_e32 v22, v0, v22
	v_mul_f32_e32 v21, v0, v21
	v_mul_f32_e32 v20, v0, v20
	v_mul_f32_e32 v19, v0, v19
	v_dual_mul_f32 v17, v0, v17 :: v_dual_mul_f32 v10, v10, v32
	v_dual_mul_f32 v0, v0, v15 :: v_dual_mul_f32 v5, v11, v5
	;; [unrolled: 1-line block ×4, first 2 shown]
	s_delay_alu instid0(VALU_DEP_3)
	v_dual_mul_f32 v14, v0, v1 :: v_dual_mul_f32 v15, v17, v28
	v_dual_mul_f32 v16, v19, v2 :: v_dual_mul_f32 v17, v21, v29
	v_dual_mul_f32 v8, v18, v8 :: v_dual_mul_f32 v13, v20, v30
	v_dual_mul_f32 v18, v22, v3 :: v_dual_mul_f32 v19, v23, v26
	v_mul_f32_e32 v4, v24, v4
	v_mul_f32_e32 v20, v25, v27
	s_delay_alu instid0(VALU_DEP_4)
	v_perm_b32 v3, v13, v8, 0x7060302
	v_perm_b32 v2, v12, v7, 0x7060302
	;; [unrolled: 1-line block ×8, first 2 shown]
	buffer_store_b128 v[0:3], v9, s[20:23], 0 offen
	;;#ASMSTART
	s_nop 0
	;;#ASMEND
	buffer_store_b128 v[4:7], v9, s[20:23], s0 offen
	;;#ASMSTART
	s_nop 0
	;;#ASMEND
.LBB16_4:
	s_nop 0
	s_sendmsg sendmsg(MSG_DEALLOC_VGPRS)
	s_endpgm
	.section	.rodata,"a",@progbits
	.p2align	6, 0x0
	.amdhsa_kernel _ZN5aiter23fused_qk_rmsnorm_kernelItLi256ELi16ELb1ELi1EEEvPT_S2_PKS1_S4_S4_S4_ffiiiiiii
		.amdhsa_group_segment_fixed_size 32
		.amdhsa_private_segment_fixed_size 0
		.amdhsa_kernarg_size 84
		.amdhsa_user_sgpr_count 14
		.amdhsa_user_sgpr_dispatch_ptr 0
		.amdhsa_user_sgpr_queue_ptr 0
		.amdhsa_user_sgpr_kernarg_segment_ptr 1
		.amdhsa_user_sgpr_dispatch_id 0
		.amdhsa_user_sgpr_private_segment_size 0
		.amdhsa_wavefront_size32 1
		.amdhsa_uses_dynamic_stack 0
		.amdhsa_enable_private_segment 0
		.amdhsa_system_sgpr_workgroup_id_x 1
		.amdhsa_system_sgpr_workgroup_id_y 1
		.amdhsa_system_sgpr_workgroup_id_z 0
		.amdhsa_system_sgpr_workgroup_info 0
		.amdhsa_system_vgpr_workitem_id 0
		.amdhsa_next_free_vgpr 35
		.amdhsa_next_free_sgpr 28
		.amdhsa_reserve_vcc 1
		.amdhsa_float_round_mode_32 0
		.amdhsa_float_round_mode_16_64 0
		.amdhsa_float_denorm_mode_32 3
		.amdhsa_float_denorm_mode_16_64 3
		.amdhsa_dx10_clamp 1
		.amdhsa_ieee_mode 1
		.amdhsa_fp16_overflow 0
		.amdhsa_workgroup_processor_mode 1
		.amdhsa_memory_ordered 1
		.amdhsa_forward_progress 0
		.amdhsa_shared_vgpr_count 0
		.amdhsa_exception_fp_ieee_invalid_op 0
		.amdhsa_exception_fp_denorm_src 0
		.amdhsa_exception_fp_ieee_div_zero 0
		.amdhsa_exception_fp_ieee_overflow 0
		.amdhsa_exception_fp_ieee_underflow 0
		.amdhsa_exception_fp_ieee_inexact 0
		.amdhsa_exception_int_div_zero 0
	.end_amdhsa_kernel
	.section	.text._ZN5aiter23fused_qk_rmsnorm_kernelItLi256ELi16ELb1ELi1EEEvPT_S2_PKS1_S4_S4_S4_ffiiiiiii,"axG",@progbits,_ZN5aiter23fused_qk_rmsnorm_kernelItLi256ELi16ELb1ELi1EEEvPT_S2_PKS1_S4_S4_S4_ffiiiiiii,comdat
.Lfunc_end16:
	.size	_ZN5aiter23fused_qk_rmsnorm_kernelItLi256ELi16ELb1ELi1EEEvPT_S2_PKS1_S4_S4_S4_ffiiiiiii, .Lfunc_end16-_ZN5aiter23fused_qk_rmsnorm_kernelItLi256ELi16ELb1ELi1EEEvPT_S2_PKS1_S4_S4_S4_ffiiiiiii
                                        ; -- End function
	.section	.AMDGPU.csdata,"",@progbits
; Kernel info:
; codeLenInByte = 1392
; NumSgprs: 30
; NumVgprs: 35
; ScratchSize: 0
; MemoryBound: 0
; FloatMode: 240
; IeeeMode: 1
; LDSByteSize: 32 bytes/workgroup (compile time only)
; SGPRBlocks: 3
; VGPRBlocks: 4
; NumSGPRsForWavesPerEU: 30
; NumVGPRsForWavesPerEU: 35
; Occupancy: 16
; WaveLimiterHint : 0
; COMPUTE_PGM_RSRC2:SCRATCH_EN: 0
; COMPUTE_PGM_RSRC2:USER_SGPR: 14
; COMPUTE_PGM_RSRC2:TRAP_HANDLER: 0
; COMPUTE_PGM_RSRC2:TGID_X_EN: 1
; COMPUTE_PGM_RSRC2:TGID_Y_EN: 1
; COMPUTE_PGM_RSRC2:TGID_Z_EN: 0
; COMPUTE_PGM_RSRC2:TIDIG_COMP_CNT: 0
	.section	.text._ZN5aiter23fused_qk_rmsnorm_kernelIDF16_Li256ELi24ELb1ELi2EEEvPT_S2_PKS1_S4_S4_S4_ffiiiiiii,"axG",@progbits,_ZN5aiter23fused_qk_rmsnorm_kernelIDF16_Li256ELi24ELb1ELi2EEEvPT_S2_PKS1_S4_S4_S4_ffiiiiiii,comdat
	.protected	_ZN5aiter23fused_qk_rmsnorm_kernelIDF16_Li256ELi24ELb1ELi2EEEvPT_S2_PKS1_S4_S4_S4_ffiiiiiii ; -- Begin function _ZN5aiter23fused_qk_rmsnorm_kernelIDF16_Li256ELi24ELb1ELi2EEEvPT_S2_PKS1_S4_S4_S4_ffiiiiiii
	.globl	_ZN5aiter23fused_qk_rmsnorm_kernelIDF16_Li256ELi24ELb1ELi2EEEvPT_S2_PKS1_S4_S4_S4_ffiiiiiii
	.p2align	8
	.type	_ZN5aiter23fused_qk_rmsnorm_kernelIDF16_Li256ELi24ELb1ELi2EEEvPT_S2_PKS1_S4_S4_S4_ffiiiiiii,@function
_ZN5aiter23fused_qk_rmsnorm_kernelIDF16_Li256ELi24ELb1ELi2EEEvPT_S2_PKS1_S4_S4_S4_ffiiiiiii: ; @_ZN5aiter23fused_qk_rmsnorm_kernelIDF16_Li256ELi24ELb1ELi2EEEvPT_S2_PKS1_S4_S4_S4_ffiiiiiii
; %bb.0:
	s_load_b256 s[4:11], s[0:1], 0x30
	s_mov_b32 s2, s14
	s_mov_b32 s3, 0
	s_delay_alu instid0(SALU_CYCLE_1) | instskip(SKIP_3) | instid1(SALU_CYCLE_1)
	s_lshl_b64 s[2:3], s[2:3], 1
	s_waitcnt lgkmcnt(0)
	s_ashr_i32 s13, s6, 31
	s_mov_b32 s12, s6
	v_cmp_ge_i64_e64 s6, s[2:3], s[12:13]
	s_delay_alu instid0(VALU_DEP_1)
	s_and_b32 vcc_lo, exec_lo, s6
	s_cbranch_vccnz .LBB17_9
; %bb.1:
	s_clause 0x2
	s_load_b256 s[16:23], s[0:1], 0x0
	s_load_b128 s[24:27], s[0:1], 0x20
	s_load_b32 s0, s[0:1], 0x50
	s_cmp_eq_u32 s15, 0
	v_dual_mov_b32 v1, s4 :: v_dual_and_b32 v2, 0x3e0, v0
	s_cselect_b32 vcc_lo, -1, 0
	v_lshlrev_b32_e32 v3, 3, v0
	s_and_b32 s1, vcc_lo, exec_lo
	s_cselect_b32 s28, s9, s10
	v_cndmask_b32_e32 v25, s5, v1, vcc_lo
	s_cselect_b32 s30, s7, s8
	s_mul_i32 s7, s3, s28
	v_mul_u32_u24_e32 v1, 24, v2
	v_and_b32_e32 v27, 31, v0
	v_and_b32_e32 v29, 7, v0
	v_lshrrev_b32_e32 v28, 3, v0
	s_delay_alu instid0(VALU_DEP_4)
	v_and_or_b32 v1, 0xf8, v3, v1
	s_waitcnt lgkmcnt(0)
	s_cselect_b32 s5, s21, s23
	s_cselect_b32 s8, s20, s22
	;; [unrolled: 1-line block ×7, first 2 shown]
	s_ashr_i32 s29, s28, 31
	s_mul_hi_u32 s0, s2, s28
	s_mul_i32 s6, s2, s29
	v_lshlrev_b32_e32 v26, 1, v1
	s_add_i32 s0, s0, s6
	s_mul_i32 s6, s2, s28
	s_add_i32 s7, s0, s7
	s_movk_i32 s16, 0x200
	s_lshl_b64 s[6:7], s[6:7], 1
	s_movk_i32 s17, 0x400
	s_add_u32 s8, s8, s6
	s_addc_u32 s19, s5, s7
	s_add_i32 s0, s30, 1
	s_mov_b32 s7, -1
	s_lshr_b32 s5, s0, 31
	s_mov_b32 s11, s7
	s_add_i32 s0, s0, s5
	s_and_b32 s5, s9, 0xffff
	s_lshl_b32 s0, s0, 1
	s_and_b32 s9, s19, 0xffff
	s_and_b32 s6, s0, -4
	v_cmp_eq_u32_e64 s0, 31, v27
	s_clause 0x2
	buffer_load_b128 v[13:16], v26, s[4:7], 0 offen
	buffer_load_b128 v[17:20], v26, s[4:7], s16 offen
	;; [unrolled: 1-line block ×3, first 2 shown]
	s_mov_b32 s10, s6
	s_clause 0x2
	buffer_load_b128 v[9:12], v26, s[8:11], 0 offen glc slc
	buffer_load_b128 v[5:8], v26, s[8:11], s16 offen glc slc
	;; [unrolled: 1-line block ×3, first 2 shown]
	v_lshlrev_b32_e32 v27, 2, v29
	s_mov_b32 s5, s3
	s_or_b32 s4, s2, 1
	s_lshl_b64 s[10:11], s[28:29], 1
	v_cmp_lt_u64_e64 s18, s[4:5], s[12:13]
	v_and_b32_e32 v0, 0x7c, v28
	v_cvt_f32_i32_e32 v28, s30
	s_add_u32 s8, s8, s10
	s_addc_u32 s4, s19, s11
	s_mov_b64 s[10:11], s[6:7]
	s_ashr_i32 s19, s15, 31
	s_and_b32 s9, s4, 0xffff
	s_mov_b64 s[4:5], 0
	s_mov_b32 s20, 0x76543210
	s_mov_b32 s21, s7
	s_waitcnt vmcnt(5)
	v_cvt_f32_f16_e32 v29, v13
	v_lshrrev_b32_e32 v13, 16, v13
	v_cvt_f32_f16_e32 v30, v14
	v_lshrrev_b32_e32 v14, 16, v14
	v_cvt_f32_f16_e32 v31, v15
	v_lshrrev_b32_e32 v15, 16, v15
	v_cvt_f32_f16_e32 v32, v16
	v_lshrrev_b32_e32 v16, 16, v16
	s_waitcnt vmcnt(4)
	v_cvt_f32_f16_e32 v33, v17
	v_lshrrev_b32_e32 v17, 16, v17
	v_cvt_f32_f16_e32 v34, v18
	v_lshrrev_b32_e32 v18, 16, v18
	v_cvt_f32_f16_e32 v35, v19
	v_lshrrev_b32_e32 v19, 16, v19
	v_cvt_f32_f16_e32 v36, v20
	v_lshrrev_b32_e32 v20, 16, v20
	;; [unrolled: 9-line block ×3, first 2 shown]
	v_cvt_f32_f16_e32 v41, v13
	v_cvt_f32_f16_e32 v42, v14
	;; [unrolled: 1-line block ×12, first 2 shown]
	s_branch .LBB17_4
.LBB17_2:                               ;   in Loop: Header=BB17_4 Depth=1
	s_or_b32 exec_lo, exec_lo, s23
	s_waitcnt vmcnt(0) lgkmcnt(0)
	s_waitcnt_vscnt null, 0x0
	s_barrier
	buffer_gl0_inv
	ds_load_b32 v54, v27
	v_cvt_f32_f16_e32 v58, v9
	v_lshrrev_b32_e32 v59, 16, v10
	v_lshrrev_b32_e32 v68, 16, v7
	v_cvt_f32_f16_e32 v69, v7
	v_lshrrev_b32_e32 v60, 16, v11
	v_cvt_f32_f16_e32 v61, v11
	;; [unrolled: 2-line block ×4, first 2 shown]
	v_lshrrev_b32_e32 v74, 16, v2
	v_lshrrev_b32_e32 v62, 16, v12
	;; [unrolled: 1-line block ×5, first 2 shown]
	v_cvt_f32_f16_e32 v63, v12
	v_cvt_f32_f16_e32 v67, v6
	;; [unrolled: 1-line block ×3, first 2 shown]
	v_lshrrev_b32_e32 v76, 16, v4
	s_waitcnt lgkmcnt(0)
	v_mov_b32_dpp v55, v54 quad_perm:[1,0,3,2] row_mask:0xf bank_mask:0xf
	v_cvt_f32_f16_e32 v77, v4
	v_mov_b32_e32 v4, v24
	v_mov_b32_e32 v8, v20
	;; [unrolled: 1-line block ×3, first 2 shown]
	v_add_f32_e32 v54, v54, v55
	v_cvt_f32_f16_e32 v18, v66
	v_cvt_f32_f16_e32 v20, v70
	;; [unrolled: 1-line block ×3, first 2 shown]
	s_mul_i32 s23, s4, s19
	v_mov_b32_dpp v55, v54 quad_perm:[2,3,0,1] row_mask:0xf bank_mask:0xf
	s_mul_hi_u32 s24, s4, s15
	s_mul_i32 s5, s5, s15
	s_add_i32 s23, s24, s23
	s_mul_i32 s4, s4, s15
	v_add_f32_e32 v54, v54, v55
	s_add_i32 s5, s23, s5
	v_mov_b32_e32 v7, v19
	v_cvt_f32_f16_e32 v19, v68
	s_lshl_b64 s[4:5], s[4:5], 1
	v_mov_b32_dpp v55, v54 row_xmask:7 row_mask:0xf bank_mask:0xf
	s_add_u32 s4, s14, s4
	s_addc_u32 s5, s1, s5
	v_mov_b32_e32 v11, v15
	v_cvt_f32_f16_e32 v15, v60
	v_add_f32_e32 v54, v54, v55
	s_and_b32 s5, s5, 0xffff
	s_delay_alu instid0(VALU_DEP_1) | instskip(SKIP_1) | instid1(VALU_DEP_2)
	v_div_scale_f32 v55, null, v28, v28, v54
	v_div_scale_f32 v9, vcc_lo, v54, v28, v54
	v_rcp_f32_e32 v56, v55
	s_waitcnt_depctr 0xfff
	v_fma_f32 v57, -v55, v56, 1.0
	s_delay_alu instid0(VALU_DEP_1) | instskip(SKIP_1) | instid1(VALU_DEP_2)
	v_fmac_f32_e32 v56, v57, v56
	v_cvt_f32_f16_e32 v57, v10
	v_mul_f32_e32 v10, v9, v56
	s_delay_alu instid0(VALU_DEP_1) | instskip(NEXT) | instid1(VALU_DEP_1)
	v_fma_f32 v5, -v55, v10, v9
	v_fmac_f32_e32 v10, v5, v56
	v_mov_b32_e32 v5, v17
	v_cvt_f32_f16_e32 v17, v64
	s_delay_alu instid0(VALU_DEP_3) | instskip(SKIP_1) | instid1(VALU_DEP_2)
	v_fma_f32 v1, -v55, v10, v9
	v_cvt_f32_f16_e32 v55, v2
	v_div_fmas_f32 v1, v1, v56, v10
	v_cvt_f32_f16_e32 v56, v3
	v_mov_b32_e32 v3, v23
	v_cvt_f32_f16_e32 v23, v74
	s_delay_alu instid0(VALU_DEP_4) | instskip(NEXT) | instid1(VALU_DEP_1)
	v_div_fixup_f32 v1, v1, v28, v54
	v_add_f32_e32 v9, v25, v1
	s_delay_alu instid0(VALU_DEP_1) | instskip(SKIP_3) | instid1(VALU_DEP_4)
	v_dual_mov_b32 v1, v21 :: v_dual_mul_f32 v10, 0x4b800000, v9
	v_cmp_gt_f32_e32 vcc_lo, 0x800000, v9
	v_mov_b32_e32 v2, v22
	v_cvt_f32_f16_e32 v22, v72
	v_dual_cndmask_b32 v9, v9, v10 :: v_dual_mov_b32 v10, v14
	s_delay_alu instid0(VALU_DEP_1) | instskip(SKIP_4) | instid1(VALU_DEP_1)
	v_rsq_f32_e32 v14, v9
	v_mov_b32_e32 v9, v13
	v_cvt_f32_f16_e32 v13, v59
	s_waitcnt_depctr 0xfff
	v_mul_f32_e32 v21, 0x45800000, v14
	v_cndmask_b32_e32 v14, v14, v21, vcc_lo
	v_mov_b32_e32 v12, v16
	v_cvt_f32_f16_e32 v16, v62
	v_cvt_f32_f16_e32 v21, v76
	s_delay_alu instid0(VALU_DEP_4)
	v_mul_f32_e32 v53, v14, v53
	v_mul_f32_e32 v54, v14, v58
	;; [unrolled: 1-line block ×24, first 2 shown]
	v_fma_mixlo_f16 v13, v54, v29, 0
	v_fma_mixlo_f16 v14, v57, v30, 0
	;; [unrolled: 1-line block ×12, first 2 shown]
	v_fma_mixhi_f16 v16, v60, v44, 0
	v_fma_mixhi_f16 v15, v59, v43, 0
	;; [unrolled: 1-line block ×12, first 2 shown]
	buffer_store_b128 v[13:16], v26, s[4:7], 0 offen
	;;#ASMSTART
	s_nop 0
	;;#ASMEND
	buffer_store_b128 v[17:20], v26, s[4:7], s16 offen
	;;#ASMSTART
	s_nop 0
	;;#ASMEND
	;; [unrolled: 4-line block ×3, first 2 shown]
.LBB17_3:                               ;   in Loop: Header=BB17_4 Depth=1
	s_delay_alu instid0(VALU_DEP_1)
	s_and_b32 s21, s22, s21
	s_mov_b64 s[4:5], 1
	s_and_b32 vcc_lo, exec_lo, s21
	s_mov_b32 s21, 0
	s_cbranch_vccz .LBB17_9
.LBB17_4:                               ; =>This Inner Loop Header: Depth=1
	s_or_b64 s[4:5], s[2:3], s[4:5]
	s_delay_alu instid0(SALU_CYCLE_1) | instskip(SKIP_1) | instid1(VALU_DEP_2)
	v_cmp_ge_i64_e64 s23, s[4:5], s[12:13]
	v_cmp_lt_i64_e64 s22, s[4:5], s[12:13]
	s_and_b32 vcc_lo, exec_lo, s23
	s_cbranch_vccnz .LBB17_3
; %bb.5:                                ;   in Loop: Header=BB17_4 Depth=1
	s_waitcnt vmcnt(2)
	v_dual_mov_b32 v13, v9 :: v_dual_mov_b32 v14, v10
	v_dual_mov_b32 v15, v11 :: v_dual_mov_b32 v16, v12
	s_waitcnt vmcnt(1)
	v_dual_mov_b32 v17, v5 :: v_dual_mov_b32 v18, v6
	v_dual_mov_b32 v19, v7 :: v_dual_mov_b32 v20, v8
	;; [unrolled: 3-line block ×3, first 2 shown]
	s_and_b32 s23, s21, s18
	s_delay_alu instid0(SALU_CYCLE_1)
	s_and_not1_b32 vcc_lo, exec_lo, s23
	s_cbranch_vccnz .LBB17_7
; %bb.6:                                ;   in Loop: Header=BB17_4 Depth=1
	s_clause 0x2
	buffer_load_b128 v[13:16], v26, s[8:11], 0 offen glc slc
	buffer_load_b128 v[17:20], v26, s[8:11], s16 offen glc slc
	;; [unrolled: 1-line block ×3, first 2 shown]
.LBB17_7:                               ;   in Loop: Header=BB17_4 Depth=1
	v_lshrrev_b32_e32 v53, 16, v9
	s_delay_alu instid0(VALU_DEP_1) | instskip(NEXT) | instid1(VALU_DEP_1)
	v_cvt_f32_f16_e32 v53, v53
	v_mul_f32_e32 v54, v53, v53
	s_delay_alu instid0(VALU_DEP_1) | instskip(NEXT) | instid1(VALU_DEP_1)
	v_fma_mix_f32 v54, v9, v9, v54 op_sel_hi:[1,1,0]
	v_fma_mix_f32 v54, v10, v10, v54 op_sel_hi:[1,1,0]
	s_delay_alu instid0(VALU_DEP_1) | instskip(NEXT) | instid1(VALU_DEP_1)
	v_fma_mix_f32 v54, v10, v10, v54 op_sel:[1,1,0] op_sel_hi:[1,1,0]
	v_fma_mix_f32 v54, v11, v11, v54 op_sel_hi:[1,1,0]
	s_delay_alu instid0(VALU_DEP_1) | instskip(NEXT) | instid1(VALU_DEP_1)
	v_fma_mix_f32 v54, v11, v11, v54 op_sel:[1,1,0] op_sel_hi:[1,1,0]
	;; [unrolled: 3-line block ×11, first 2 shown]
	v_mov_b32_dpp v55, v54 quad_perm:[1,0,3,2] row_mask:0xf bank_mask:0xf
	s_delay_alu instid0(VALU_DEP_1) | instskip(NEXT) | instid1(VALU_DEP_1)
	v_add_f32_e32 v54, v54, v55
	v_mov_b32_dpp v55, v54 quad_perm:[2,3,0,1] row_mask:0xf bank_mask:0xf
	s_delay_alu instid0(VALU_DEP_1) | instskip(NEXT) | instid1(VALU_DEP_1)
	v_add_f32_e32 v54, v54, v55
	v_mov_b32_dpp v55, v54 row_xmask:7 row_mask:0xf bank_mask:0xf
	s_delay_alu instid0(VALU_DEP_1) | instskip(NEXT) | instid1(VALU_DEP_1)
	v_add_f32_e32 v54, v54, v55
	v_mov_b32_dpp v55, v54 row_xmask:15 row_mask:0xf bank_mask:0xf
	s_and_saveexec_b32 s23, s0
	s_cbranch_execz .LBB17_2
; %bb.8:                                ;   in Loop: Header=BB17_4 Depth=1
	s_delay_alu instid0(VALU_DEP_1) | instskip(NEXT) | instid1(VALU_DEP_1)
	v_add_f32_e32 v54, v54, v55
	v_permlanex16_b32 v55, v54, s20, 0xfedcba98 op_sel:[1,1]
	s_delay_alu instid0(VALU_DEP_1)
	v_add_f32_e32 v54, v54, v55
	ds_store_b32 v0, v54
	s_branch .LBB17_2
.LBB17_9:
	s_nop 0
	s_sendmsg sendmsg(MSG_DEALLOC_VGPRS)
	s_endpgm
	.section	.rodata,"a",@progbits
	.p2align	6, 0x0
	.amdhsa_kernel _ZN5aiter23fused_qk_rmsnorm_kernelIDF16_Li256ELi24ELb1ELi2EEEvPT_S2_PKS1_S4_S4_S4_ffiiiiiii
		.amdhsa_group_segment_fixed_size 32
		.amdhsa_private_segment_fixed_size 0
		.amdhsa_kernarg_size 84
		.amdhsa_user_sgpr_count 14
		.amdhsa_user_sgpr_dispatch_ptr 0
		.amdhsa_user_sgpr_queue_ptr 0
		.amdhsa_user_sgpr_kernarg_segment_ptr 1
		.amdhsa_user_sgpr_dispatch_id 0
		.amdhsa_user_sgpr_private_segment_size 0
		.amdhsa_wavefront_size32 1
		.amdhsa_uses_dynamic_stack 0
		.amdhsa_enable_private_segment 0
		.amdhsa_system_sgpr_workgroup_id_x 1
		.amdhsa_system_sgpr_workgroup_id_y 1
		.amdhsa_system_sgpr_workgroup_id_z 0
		.amdhsa_system_sgpr_workgroup_info 0
		.amdhsa_system_vgpr_workitem_id 0
		.amdhsa_next_free_vgpr 78
		.amdhsa_next_free_sgpr 31
		.amdhsa_reserve_vcc 1
		.amdhsa_float_round_mode_32 0
		.amdhsa_float_round_mode_16_64 0
		.amdhsa_float_denorm_mode_32 3
		.amdhsa_float_denorm_mode_16_64 3
		.amdhsa_dx10_clamp 1
		.amdhsa_ieee_mode 1
		.amdhsa_fp16_overflow 0
		.amdhsa_workgroup_processor_mode 1
		.amdhsa_memory_ordered 1
		.amdhsa_forward_progress 0
		.amdhsa_shared_vgpr_count 0
		.amdhsa_exception_fp_ieee_invalid_op 0
		.amdhsa_exception_fp_denorm_src 0
		.amdhsa_exception_fp_ieee_div_zero 0
		.amdhsa_exception_fp_ieee_overflow 0
		.amdhsa_exception_fp_ieee_underflow 0
		.amdhsa_exception_fp_ieee_inexact 0
		.amdhsa_exception_int_div_zero 0
	.end_amdhsa_kernel
	.section	.text._ZN5aiter23fused_qk_rmsnorm_kernelIDF16_Li256ELi24ELb1ELi2EEEvPT_S2_PKS1_S4_S4_S4_ffiiiiiii,"axG",@progbits,_ZN5aiter23fused_qk_rmsnorm_kernelIDF16_Li256ELi24ELb1ELi2EEEvPT_S2_PKS1_S4_S4_S4_ffiiiiiii,comdat
.Lfunc_end17:
	.size	_ZN5aiter23fused_qk_rmsnorm_kernelIDF16_Li256ELi24ELb1ELi2EEEvPT_S2_PKS1_S4_S4_S4_ffiiiiiii, .Lfunc_end17-_ZN5aiter23fused_qk_rmsnorm_kernelIDF16_Li256ELi24ELb1ELi2EEEvPT_S2_PKS1_S4_S4_S4_ffiiiiiii
                                        ; -- End function
	.section	.AMDGPU.csdata,"",@progbits
; Kernel info:
; codeLenInByte = 1936
; NumSgprs: 33
; NumVgprs: 78
; ScratchSize: 0
; MemoryBound: 0
; FloatMode: 240
; IeeeMode: 1
; LDSByteSize: 32 bytes/workgroup (compile time only)
; SGPRBlocks: 4
; VGPRBlocks: 9
; NumSGPRsForWavesPerEU: 33
; NumVGPRsForWavesPerEU: 78
; Occupancy: 16
; WaveLimiterHint : 0
; COMPUTE_PGM_RSRC2:SCRATCH_EN: 0
; COMPUTE_PGM_RSRC2:USER_SGPR: 14
; COMPUTE_PGM_RSRC2:TRAP_HANDLER: 0
; COMPUTE_PGM_RSRC2:TGID_X_EN: 1
; COMPUTE_PGM_RSRC2:TGID_Y_EN: 1
; COMPUTE_PGM_RSRC2:TGID_Z_EN: 0
; COMPUTE_PGM_RSRC2:TIDIG_COMP_CNT: 0
	.section	.text._ZN5aiter23fused_qk_rmsnorm_kernelItLi256ELi24ELb1ELi2EEEvPT_S2_PKS1_S4_S4_S4_ffiiiiiii,"axG",@progbits,_ZN5aiter23fused_qk_rmsnorm_kernelItLi256ELi24ELb1ELi2EEEvPT_S2_PKS1_S4_S4_S4_ffiiiiiii,comdat
	.protected	_ZN5aiter23fused_qk_rmsnorm_kernelItLi256ELi24ELb1ELi2EEEvPT_S2_PKS1_S4_S4_S4_ffiiiiiii ; -- Begin function _ZN5aiter23fused_qk_rmsnorm_kernelItLi256ELi24ELb1ELi2EEEvPT_S2_PKS1_S4_S4_S4_ffiiiiiii
	.globl	_ZN5aiter23fused_qk_rmsnorm_kernelItLi256ELi24ELb1ELi2EEEvPT_S2_PKS1_S4_S4_S4_ffiiiiiii
	.p2align	8
	.type	_ZN5aiter23fused_qk_rmsnorm_kernelItLi256ELi24ELb1ELi2EEEvPT_S2_PKS1_S4_S4_S4_ffiiiiiii,@function
_ZN5aiter23fused_qk_rmsnorm_kernelItLi256ELi24ELb1ELi2EEEvPT_S2_PKS1_S4_S4_S4_ffiiiiiii: ; @_ZN5aiter23fused_qk_rmsnorm_kernelItLi256ELi24ELb1ELi2EEEvPT_S2_PKS1_S4_S4_S4_ffiiiiiii
; %bb.0:
	s_load_b256 s[4:11], s[0:1], 0x30
	s_mov_b32 s2, s14
	s_mov_b32 s3, 0
	s_delay_alu instid0(SALU_CYCLE_1) | instskip(SKIP_3) | instid1(SALU_CYCLE_1)
	s_lshl_b64 s[2:3], s[2:3], 1
	s_waitcnt lgkmcnt(0)
	s_ashr_i32 s13, s6, 31
	s_mov_b32 s12, s6
	v_cmp_ge_i64_e64 s6, s[2:3], s[12:13]
	s_delay_alu instid0(VALU_DEP_1)
	s_and_b32 vcc_lo, exec_lo, s6
	s_cbranch_vccnz .LBB18_9
; %bb.1:
	s_clause 0x2
	s_load_b256 s[16:23], s[0:1], 0x0
	s_load_b128 s[24:27], s[0:1], 0x20
	s_load_b32 s0, s[0:1], 0x50
	s_cmp_eq_u32 s15, 0
	v_dual_mov_b32 v1, s4 :: v_dual_and_b32 v2, 0x3e0, v0
	s_cselect_b32 vcc_lo, -1, 0
	v_lshlrev_b32_e32 v3, 3, v0
	s_and_b32 s1, vcc_lo, exec_lo
	s_cselect_b32 s28, s9, s10
	v_cndmask_b32_e32 v25, s5, v1, vcc_lo
	s_cselect_b32 s30, s7, s8
	s_mul_i32 s7, s3, s28
	v_mul_u32_u24_e32 v1, 24, v2
	v_and_b32_e32 v27, 31, v0
	v_and_b32_e32 v29, 7, v0
	v_lshrrev_b32_e32 v28, 3, v0
	s_delay_alu instid0(VALU_DEP_4)
	v_and_or_b32 v1, 0xf8, v3, v1
	s_waitcnt lgkmcnt(0)
	s_cselect_b32 s5, s21, s23
	s_cselect_b32 s8, s20, s22
	;; [unrolled: 1-line block ×7, first 2 shown]
	s_ashr_i32 s29, s28, 31
	s_mul_hi_u32 s0, s2, s28
	s_mul_i32 s6, s2, s29
	v_lshlrev_b32_e32 v26, 1, v1
	s_add_i32 s0, s0, s6
	s_mul_i32 s6, s2, s28
	s_add_i32 s7, s0, s7
	s_movk_i32 s16, 0x200
	s_lshl_b64 s[6:7], s[6:7], 1
	s_movk_i32 s17, 0x400
	s_add_u32 s8, s8, s6
	s_addc_u32 s19, s5, s7
	s_add_i32 s0, s30, 1
	s_mov_b32 s7, -1
	s_lshr_b32 s5, s0, 31
	s_mov_b32 s11, s7
	s_add_i32 s0, s0, s5
	s_and_b32 s5, s9, 0xffff
	s_lshl_b32 s0, s0, 1
	s_and_b32 s9, s19, 0xffff
	s_and_b32 s6, s0, -4
	v_cmp_eq_u32_e64 s0, 31, v27
	s_clause 0x2
	buffer_load_b128 v[13:16], v26, s[4:7], 0 offen
	buffer_load_b128 v[17:20], v26, s[4:7], s16 offen
	;; [unrolled: 1-line block ×3, first 2 shown]
	s_mov_b32 s10, s6
	s_clause 0x2
	buffer_load_b128 v[9:12], v26, s[8:11], 0 offen glc slc
	buffer_load_b128 v[5:8], v26, s[8:11], s16 offen glc slc
	;; [unrolled: 1-line block ×3, first 2 shown]
	v_lshlrev_b32_e32 v27, 2, v29
	s_mov_b32 s5, s3
	s_or_b32 s4, s2, 1
	s_lshl_b64 s[10:11], s[28:29], 1
	v_cmp_lt_u64_e64 s18, s[4:5], s[12:13]
	v_and_b32_e32 v0, 0x7c, v28
	v_cvt_f32_i32_e32 v28, s30
	s_add_u32 s8, s8, s10
	s_addc_u32 s4, s19, s11
	s_mov_b64 s[10:11], s[6:7]
	s_ashr_i32 s19, s15, 31
	s_and_b32 s9, s4, 0xffff
	s_mov_b64 s[4:5], 0
	s_mov_b32 s20, 0x76543210
	s_mov_b32 s21, s7
	s_waitcnt vmcnt(5)
	v_lshrrev_b32_e32 v29, 16, v13
	v_and_b32_e32 v13, 0xffff, v13
	v_lshrrev_b32_e32 v31, 16, v14
	v_and_b32_e32 v14, 0xffff, v14
	v_lshrrev_b32_e32 v33, 16, v15
	v_and_b32_e32 v15, 0xffff, v15
	v_lshrrev_b32_e32 v35, 16, v16
	v_and_b32_e32 v16, 0xffff, v16
	s_waitcnt vmcnt(4)
	v_lshrrev_b32_e32 v37, 16, v17
	v_and_b32_e32 v17, 0xffff, v17
	v_lshrrev_b32_e32 v39, 16, v18
	v_and_b32_e32 v18, 0xffff, v18
	v_lshrrev_b32_e32 v41, 16, v19
	v_and_b32_e32 v19, 0xffff, v19
	v_lshrrev_b32_e32 v43, 16, v20
	v_and_b32_e32 v20, 0xffff, v20
	;; [unrolled: 9-line block ×3, first 2 shown]
	v_cvt_f32_u32_e32 v29, v29
	v_cvt_f32_u32_e32 v30, v13
	;; [unrolled: 1-line block ×24, first 2 shown]
	s_branch .LBB18_4
.LBB18_2:                               ;   in Loop: Header=BB18_4 Depth=1
	s_or_b32 exec_lo, exec_lo, s23
	s_waitcnt vmcnt(0) lgkmcnt(0)
	s_waitcnt_vscnt null, 0x0
	s_barrier
	buffer_gl0_inv
	ds_load_b32 v1, v27
	s_mul_i32 s23, s4, s19
	s_mul_hi_u32 s24, s4, s15
	s_mul_i32 s5, s5, s15
	s_add_i32 s23, s24, s23
	s_mul_i32 s4, s4, s15
	s_add_i32 s5, s23, s5
	v_mov_b32_e32 v10, v14
	s_lshl_b64 s[4:5], s[4:5], 1
	v_mov_b32_e32 v8, v20
	s_add_u32 s4, s14, s4
	s_addc_u32 s5, s1, s5
	v_mov_b32_e32 v12, v16
	s_and_b32 s5, s5, 0xffff
	s_waitcnt lgkmcnt(0)
	v_mov_b32_dpp v2, v1 quad_perm:[1,0,3,2] row_mask:0xf bank_mask:0xf
	s_delay_alu instid0(VALU_DEP_1) | instskip(NEXT) | instid1(VALU_DEP_1)
	v_add_f32_e32 v1, v1, v2
	v_mov_b32_dpp v2, v1 quad_perm:[2,3,0,1] row_mask:0xf bank_mask:0xf
	s_delay_alu instid0(VALU_DEP_1) | instskip(NEXT) | instid1(VALU_DEP_1)
	v_add_f32_e32 v1, v1, v2
	v_mov_b32_dpp v2, v1 row_xmask:7 row_mask:0xf bank_mask:0xf
	s_delay_alu instid0(VALU_DEP_1) | instskip(NEXT) | instid1(VALU_DEP_1)
	v_add_f32_e32 v1, v1, v2
	v_div_scale_f32 v2, null, v28, v28, v1
	v_div_scale_f32 v5, vcc_lo, v1, v28, v1
	s_delay_alu instid0(VALU_DEP_2) | instskip(SKIP_2) | instid1(VALU_DEP_1)
	v_rcp_f32_e32 v3, v2
	s_waitcnt_depctr 0xfff
	v_fma_f32 v4, -v2, v3, 1.0
	v_fmac_f32_e32 v3, v4, v3
	s_delay_alu instid0(VALU_DEP_1) | instskip(NEXT) | instid1(VALU_DEP_1)
	v_mul_f32_e32 v4, v5, v3
	v_fma_f32 v6, -v2, v4, v5
	s_delay_alu instid0(VALU_DEP_1) | instskip(SKIP_1) | instid1(VALU_DEP_2)
	v_fmac_f32_e32 v4, v6, v3
	v_mov_b32_e32 v6, v18
	v_fma_f32 v2, -v2, v4, v5
	v_mov_b32_e32 v5, v17
	s_delay_alu instid0(VALU_DEP_2) | instskip(SKIP_1) | instid1(VALU_DEP_2)
	v_div_fmas_f32 v2, v2, v3, v4
	v_dual_mov_b32 v4, v24 :: v_dual_mov_b32 v3, v23
	v_div_fixup_f32 v1, v2, v28, v1
	s_delay_alu instid0(VALU_DEP_1) | instskip(NEXT) | instid1(VALU_DEP_1)
	v_add_f32_e32 v1, v25, v1
	v_mul_f32_e32 v2, 0x4b800000, v1
	v_cmp_gt_f32_e32 vcc_lo, 0x800000, v1
	s_delay_alu instid0(VALU_DEP_2) | instskip(NEXT) | instid1(VALU_DEP_1)
	v_dual_cndmask_b32 v1, v1, v2 :: v_dual_mov_b32 v2, v22
	v_rsq_f32_e32 v9, v1
	v_mov_b32_e32 v1, v21
	s_waitcnt_depctr 0xfff
	v_dual_mov_b32 v7, v19 :: v_dual_mul_f32 v16, 0x45800000, v9
	s_delay_alu instid0(VALU_DEP_1) | instskip(NEXT) | instid1(VALU_DEP_1)
	v_dual_mov_b32 v11, v15 :: v_dual_cndmask_b32 v14, v9, v16
	v_dual_mov_b32 v9, v13 :: v_dual_mul_f32 v16, v14, v59
	v_mul_f32_e32 v24, v14, v67
	v_mul_f32_e32 v15, v14, v61
	;; [unrolled: 1-line block ×4, first 2 shown]
	s_delay_alu instid0(VALU_DEP_4)
	v_dual_mul_f32 v57, v14, v58 :: v_dual_mul_f32 v24, v24, v41
	v_mul_f32_e32 v18, v14, v56
	v_mul_f32_e32 v56, v14, v60
	v_dual_mul_f32 v60, v14, v74 :: v_dual_mul_f32 v15, v15, v36
	v_dual_mul_f32 v22, v14, v71 :: v_dual_mul_f32 v17, v17, v34
	v_mul_f32_e32 v23, v14, v69
	s_delay_alu instid0(VALU_DEP_3) | instskip(SKIP_4) | instid1(VALU_DEP_4)
	v_dual_mul_f32 v60, v60, v49 :: v_dual_mul_f32 v57, v57, v38
	v_dual_mul_f32 v19, v14, v55 :: v_dual_mul_f32 v56, v56, v37
	v_mul_f32_e32 v20, v14, v53
	v_mul_f32_e32 v53, v14, v65
	;; [unrolled: 1-line block ×4, first 2 shown]
	s_delay_alu instid0(VALU_DEP_4)
	v_dual_mul_f32 v13, v14, v63 :: v_dual_mul_f32 v20, v20, v29
	v_mul_f32_e32 v54, v14, v64
	v_mul_f32_e32 v64, v14, v68
	;; [unrolled: 1-line block ×6, first 2 shown]
	v_dual_mul_f32 v63, v14, v70 :: v_dual_mul_f32 v64, v64, v45
	v_dual_mul_f32 v14, v14, v66 :: v_dual_mul_f32 v55, v55, v40
	;; [unrolled: 1-line block ×3, first 2 shown]
	v_mul_f32_e32 v23, v23, v44
	v_mul_f32_e32 v65, v16, v33
	;; [unrolled: 1-line block ×3, first 2 shown]
	v_dual_mul_f32 v54, v54, v39 :: v_dual_mul_f32 v63, v63, v48
	v_dual_mul_f32 v53, v53, v42 :: v_dual_mul_f32 v22, v22, v43
	;; [unrolled: 1-line block ×4, first 2 shown]
	v_mul_f32_e32 v58, v58, v51
	v_perm_b32 v16, v13, v15, 0x7060302
	v_perm_b32 v15, v65, v17, 0x7060302
	;; [unrolled: 1-line block ×12, first 2 shown]
	buffer_store_b128 v[13:16], v26, s[4:7], 0 offen
	;;#ASMSTART
	s_nop 0
	;;#ASMEND
	buffer_store_b128 v[17:20], v26, s[4:7], s16 offen
	;;#ASMSTART
	s_nop 0
	;;#ASMEND
	;; [unrolled: 4-line block ×3, first 2 shown]
.LBB18_3:                               ;   in Loop: Header=BB18_4 Depth=1
	s_delay_alu instid0(VALU_DEP_1)
	s_and_b32 s21, s22, s21
	s_mov_b64 s[4:5], 1
	s_and_b32 vcc_lo, exec_lo, s21
	s_mov_b32 s21, 0
	s_cbranch_vccz .LBB18_9
.LBB18_4:                               ; =>This Inner Loop Header: Depth=1
	s_or_b64 s[4:5], s[2:3], s[4:5]
	s_delay_alu instid0(SALU_CYCLE_1) | instskip(SKIP_1) | instid1(VALU_DEP_2)
	v_cmp_ge_i64_e64 s23, s[4:5], s[12:13]
	v_cmp_lt_i64_e64 s22, s[4:5], s[12:13]
	s_and_b32 vcc_lo, exec_lo, s23
	s_cbranch_vccnz .LBB18_3
; %bb.5:                                ;   in Loop: Header=BB18_4 Depth=1
	s_waitcnt vmcnt(2)
	v_dual_mov_b32 v13, v9 :: v_dual_mov_b32 v14, v10
	v_dual_mov_b32 v15, v11 :: v_dual_mov_b32 v16, v12
	s_waitcnt vmcnt(1)
	v_dual_mov_b32 v17, v5 :: v_dual_mov_b32 v18, v6
	v_dual_mov_b32 v19, v7 :: v_dual_mov_b32 v20, v8
	;; [unrolled: 3-line block ×3, first 2 shown]
	s_and_b32 s23, s21, s18
	s_delay_alu instid0(SALU_CYCLE_1)
	s_and_not1_b32 vcc_lo, exec_lo, s23
	s_cbranch_vccnz .LBB18_7
; %bb.6:                                ;   in Loop: Header=BB18_4 Depth=1
	s_clause 0x2
	buffer_load_b128 v[13:16], v26, s[8:11], 0 offen glc slc
	buffer_load_b128 v[17:20], v26, s[8:11], s16 offen glc slc
	;; [unrolled: 1-line block ×3, first 2 shown]
.LBB18_7:                               ;   in Loop: Header=BB18_4 Depth=1
	v_and_b32_e32 v53, 0xffff0000, v9
	v_lshlrev_b32_e32 v55, 16, v10
	v_lshlrev_b32_e32 v54, 16, v9
	;; [unrolled: 1-line block ×3, first 2 shown]
	v_and_b32_e32 v59, 0xffff0000, v11
	v_dual_mul_f32 v9, v53, v53 :: v_dual_and_b32 v56, 0xffff0000, v10
	v_lshlrev_b32_e32 v61, 16, v12
	v_and_b32_e32 v63, 0xffff0000, v12
	v_lshlrev_b32_e32 v65, 16, v7
	s_delay_alu instid0(VALU_DEP_4) | instskip(SKIP_3) | instid1(VALU_DEP_4)
	v_dual_fmac_f32 v9, v54, v54 :: v_dual_lshlrev_b32 v58, 16, v5
	v_and_b32_e32 v67, 0xffff0000, v7
	v_lshlrev_b32_e32 v69, 16, v8
	v_and_b32_e32 v71, 0xffff0000, v8
	v_fmac_f32_e32 v9, v55, v55
	v_lshlrev_b32_e32 v73, 16, v3
	v_lshlrev_b32_e32 v75, 16, v4
	v_and_b32_e32 v60, 0xffff0000, v5
	s_delay_alu instid0(VALU_DEP_4)
	v_dual_fmac_f32 v9, v56, v56 :: v_dual_lshlrev_b32 v62, 16, v6
	v_and_b32_e32 v64, 0xffff0000, v6
	v_lshlrev_b32_e32 v70, 16, v2
	v_lshlrev_b32_e32 v66, 16, v1
	v_and_b32_e32 v68, 0xffff0000, v1
	v_dual_fmac_f32 v9, v57, v57 :: v_dual_and_b32 v72, 0xffff0000, v2
	v_and_b32_e32 v74, 0xffff0000, v3
	s_delay_alu instid0(VALU_DEP_2) | instskip(NEXT) | instid1(VALU_DEP_1)
	v_dual_fmac_f32 v9, v59, v59 :: v_dual_and_b32 v76, 0xffff0000, v4
	v_fmac_f32_e32 v9, v61, v61
	s_delay_alu instid0(VALU_DEP_1) | instskip(NEXT) | instid1(VALU_DEP_1)
	v_fmac_f32_e32 v9, v63, v63
	v_fmac_f32_e32 v9, v58, v58
	s_delay_alu instid0(VALU_DEP_1) | instskip(NEXT) | instid1(VALU_DEP_1)
	v_fmac_f32_e32 v9, v60, v60
	;; [unrolled: 3-line block ×9, first 2 shown]
	v_mov_b32_dpp v1, v9 quad_perm:[1,0,3,2] row_mask:0xf bank_mask:0xf
	s_delay_alu instid0(VALU_DEP_1) | instskip(NEXT) | instid1(VALU_DEP_1)
	v_add_f32_e32 v1, v9, v1
	v_mov_b32_dpp v2, v1 quad_perm:[2,3,0,1] row_mask:0xf bank_mask:0xf
	s_delay_alu instid0(VALU_DEP_1) | instskip(NEXT) | instid1(VALU_DEP_1)
	v_add_f32_e32 v1, v1, v2
	v_mov_b32_dpp v2, v1 row_xmask:7 row_mask:0xf bank_mask:0xf
	s_delay_alu instid0(VALU_DEP_1) | instskip(NEXT) | instid1(VALU_DEP_1)
	v_add_f32_e32 v1, v1, v2
	v_mov_b32_dpp v2, v1 row_xmask:15 row_mask:0xf bank_mask:0xf
	s_and_saveexec_b32 s23, s0
	s_cbranch_execz .LBB18_2
; %bb.8:                                ;   in Loop: Header=BB18_4 Depth=1
	s_delay_alu instid0(VALU_DEP_1) | instskip(NEXT) | instid1(VALU_DEP_1)
	v_add_f32_e32 v1, v1, v2
	v_permlanex16_b32 v2, v1, s20, 0xfedcba98 op_sel:[1,1]
	s_delay_alu instid0(VALU_DEP_1)
	v_add_f32_e32 v1, v1, v2
	ds_store_b32 v0, v1
	s_branch .LBB18_2
.LBB18_9:
	s_nop 0
	s_sendmsg sendmsg(MSG_DEALLOC_VGPRS)
	s_endpgm
	.section	.rodata,"a",@progbits
	.p2align	6, 0x0
	.amdhsa_kernel _ZN5aiter23fused_qk_rmsnorm_kernelItLi256ELi24ELb1ELi2EEEvPT_S2_PKS1_S4_S4_S4_ffiiiiiii
		.amdhsa_group_segment_fixed_size 32
		.amdhsa_private_segment_fixed_size 0
		.amdhsa_kernarg_size 84
		.amdhsa_user_sgpr_count 14
		.amdhsa_user_sgpr_dispatch_ptr 0
		.amdhsa_user_sgpr_queue_ptr 0
		.amdhsa_user_sgpr_kernarg_segment_ptr 1
		.amdhsa_user_sgpr_dispatch_id 0
		.amdhsa_user_sgpr_private_segment_size 0
		.amdhsa_wavefront_size32 1
		.amdhsa_uses_dynamic_stack 0
		.amdhsa_enable_private_segment 0
		.amdhsa_system_sgpr_workgroup_id_x 1
		.amdhsa_system_sgpr_workgroup_id_y 1
		.amdhsa_system_sgpr_workgroup_id_z 0
		.amdhsa_system_sgpr_workgroup_info 0
		.amdhsa_system_vgpr_workitem_id 0
		.amdhsa_next_free_vgpr 77
		.amdhsa_next_free_sgpr 31
		.amdhsa_reserve_vcc 1
		.amdhsa_float_round_mode_32 0
		.amdhsa_float_round_mode_16_64 0
		.amdhsa_float_denorm_mode_32 3
		.amdhsa_float_denorm_mode_16_64 3
		.amdhsa_dx10_clamp 1
		.amdhsa_ieee_mode 1
		.amdhsa_fp16_overflow 0
		.amdhsa_workgroup_processor_mode 1
		.amdhsa_memory_ordered 1
		.amdhsa_forward_progress 0
		.amdhsa_shared_vgpr_count 0
		.amdhsa_exception_fp_ieee_invalid_op 0
		.amdhsa_exception_fp_denorm_src 0
		.amdhsa_exception_fp_ieee_div_zero 0
		.amdhsa_exception_fp_ieee_overflow 0
		.amdhsa_exception_fp_ieee_underflow 0
		.amdhsa_exception_fp_ieee_inexact 0
		.amdhsa_exception_int_div_zero 0
	.end_amdhsa_kernel
	.section	.text._ZN5aiter23fused_qk_rmsnorm_kernelItLi256ELi24ELb1ELi2EEEvPT_S2_PKS1_S4_S4_S4_ffiiiiiii,"axG",@progbits,_ZN5aiter23fused_qk_rmsnorm_kernelItLi256ELi24ELb1ELi2EEEvPT_S2_PKS1_S4_S4_S4_ffiiiiiii,comdat
.Lfunc_end18:
	.size	_ZN5aiter23fused_qk_rmsnorm_kernelItLi256ELi24ELb1ELi2EEEvPT_S2_PKS1_S4_S4_S4_ffiiiiiii, .Lfunc_end18-_ZN5aiter23fused_qk_rmsnorm_kernelItLi256ELi24ELb1ELi2EEEvPT_S2_PKS1_S4_S4_S4_ffiiiiiii
                                        ; -- End function
	.section	.AMDGPU.csdata,"",@progbits
; Kernel info:
; codeLenInByte = 2004
; NumSgprs: 33
; NumVgprs: 77
; ScratchSize: 0
; MemoryBound: 0
; FloatMode: 240
; IeeeMode: 1
; LDSByteSize: 32 bytes/workgroup (compile time only)
; SGPRBlocks: 4
; VGPRBlocks: 9
; NumSGPRsForWavesPerEU: 33
; NumVGPRsForWavesPerEU: 77
; Occupancy: 16
; WaveLimiterHint : 0
; COMPUTE_PGM_RSRC2:SCRATCH_EN: 0
; COMPUTE_PGM_RSRC2:USER_SGPR: 14
; COMPUTE_PGM_RSRC2:TRAP_HANDLER: 0
; COMPUTE_PGM_RSRC2:TGID_X_EN: 1
; COMPUTE_PGM_RSRC2:TGID_Y_EN: 1
; COMPUTE_PGM_RSRC2:TGID_Z_EN: 0
; COMPUTE_PGM_RSRC2:TIDIG_COMP_CNT: 0
	.section	.text._ZN5aiter23fused_qk_rmsnorm_kernelIDF16_Li256ELi24ELb1ELi1EEEvPT_S2_PKS1_S4_S4_S4_ffiiiiiii,"axG",@progbits,_ZN5aiter23fused_qk_rmsnorm_kernelIDF16_Li256ELi24ELb1ELi1EEEvPT_S2_PKS1_S4_S4_S4_ffiiiiiii,comdat
	.protected	_ZN5aiter23fused_qk_rmsnorm_kernelIDF16_Li256ELi24ELb1ELi1EEEvPT_S2_PKS1_S4_S4_S4_ffiiiiiii ; -- Begin function _ZN5aiter23fused_qk_rmsnorm_kernelIDF16_Li256ELi24ELb1ELi1EEEvPT_S2_PKS1_S4_S4_S4_ffiiiiiii
	.globl	_ZN5aiter23fused_qk_rmsnorm_kernelIDF16_Li256ELi24ELb1ELi1EEEvPT_S2_PKS1_S4_S4_S4_ffiiiiiii
	.p2align	8
	.type	_ZN5aiter23fused_qk_rmsnorm_kernelIDF16_Li256ELi24ELb1ELi1EEEvPT_S2_PKS1_S4_S4_S4_ffiiiiiii,@function
_ZN5aiter23fused_qk_rmsnorm_kernelIDF16_Li256ELi24ELb1ELi1EEEvPT_S2_PKS1_S4_S4_S4_ffiiiiiii: ; @_ZN5aiter23fused_qk_rmsnorm_kernelIDF16_Li256ELi24ELb1ELi1EEEvPT_S2_PKS1_S4_S4_S4_ffiiiiiii
; %bb.0:
	s_load_b256 s[4:11], s[0:1], 0x30
	s_mov_b32 s2, s15
	s_mov_b32 s15, 0
	s_waitcnt lgkmcnt(0)
	s_ashr_i32 s13, s6, 31
	s_mov_b32 s12, s6
	s_delay_alu instid0(SALU_CYCLE_1) | instskip(NEXT) | instid1(VALU_DEP_1)
	v_cmp_ge_i64_e64 s3, s[14:15], s[12:13]
	s_and_b32 vcc_lo, exec_lo, s3
	s_cbranch_vccnz .LBB19_4
; %bb.1:
	s_clause 0x2
	s_load_b256 s[16:23], s[0:1], 0x0
	s_load_b128 s[24:27], s[0:1], 0x20
	s_load_b32 s3, s[0:1], 0x50
	s_cmp_eq_u32 s2, 0
	v_and_b32_e32 v2, 0x3e0, v0
	s_cselect_b32 s0, -1, 0
	v_lshlrev_b32_e32 v1, 3, v0
	s_and_b32 s1, s0, exec_lo
	s_cselect_b32 s1, s9, s10
	s_cselect_b32 s6, s7, s8
	s_mul_hi_u32 s9, s1, s14
	v_mul_u32_u24_e32 v2, 24, v2
	v_and_b32_e32 v40, 31, v0
	s_delay_alu instid0(VALU_DEP_2)
	v_and_or_b32 v1, 0xf8, v1, v2
	s_waitcnt lgkmcnt(0)
	s_cselect_b32 s2, s21, s23
	s_cselect_b32 s7, s20, s22
	;; [unrolled: 1-line block ×4, first 2 shown]
	s_ashr_i32 s8, s1, 31
	v_lshlrev_b32_e32 v13, 1, v1
	s_mul_i32 s12, s8, s14
	s_mul_i32 s8, s1, s14
	s_add_i32 s9, s9, s12
	s_mov_b32 s23, -1
	s_lshl_b64 s[8:9], s[8:9], 1
	s_mov_b32 s27, s23
	s_add_u32 s24, s7, s8
	s_addc_u32 s1, s2, s9
	s_add_i32 s2, s6, 1
	s_and_b32 s25, s1, 0xffff
	s_lshr_b32 s7, s2, 31
	s_movk_i32 s1, 0x400
	s_add_i32 s2, s2, s7
	s_and_b32 s21, s10, 0xffff
	s_lshl_b32 s2, s2, 1
	s_mov_b32 s7, exec_lo
	s_and_b32 s22, s2, -4
	s_movk_i32 s2, 0x200
	s_mov_b32 s26, s22
	s_clause 0x2
	buffer_load_b128 v[15:18], v13, s[24:27], 0 offen glc slc
	buffer_load_b128 v[35:38], v13, s[24:27], s1 offen glc slc
	;; [unrolled: 1-line block ×3, first 2 shown]
	s_waitcnt vmcnt(2)
	v_lshrrev_b32_e32 v14, 16, v15
	v_cvt_f32_f16_e32 v30, v15
	v_cvt_f32_f16_e32 v28, v16
	v_lshrrev_b32_e32 v20, 16, v16
	s_waitcnt vmcnt(0)
	v_cvt_f32_f16_e32 v23, v31
	v_cvt_f32_f16_e32 v14, v14
	v_lshrrev_b32_e32 v26, 16, v31
	v_cvt_f32_f16_e32 v21, v32
	v_cvt_f32_f16_e32 v22, v33
	v_lshrrev_b32_e32 v39, 16, v34
	v_mul_f32_e32 v19, v14, v14
	v_cvt_f32_f16_e32 v29, v17
	v_lshrrev_b32_e32 v24, 16, v17
	v_lshrrev_b32_e32 v43, 16, v37
	;; [unrolled: 1-line block ×3, first 2 shown]
	v_fma_mix_f32 v19, v15, v15, v19 op_sel_hi:[1,1,0]
	v_lshrrev_b32_e32 v25, 16, v18
	v_lshrrev_b32_e32 v41, 16, v35
	;; [unrolled: 1-line block ×3, first 2 shown]
	v_cvt_f32_f16_e32 v27, v18
	v_fma_mix_f32 v19, v16, v16, v19 op_sel_hi:[1,1,0]
	s_delay_alu instid0(VALU_DEP_1) | instskip(NEXT) | instid1(VALU_DEP_1)
	v_fma_mix_f32 v19, v16, v16, v19 op_sel:[1,1,0] op_sel_hi:[1,1,0]
	v_fma_mix_f32 v19, v17, v17, v19 op_sel_hi:[1,1,0]
	s_delay_alu instid0(VALU_DEP_1) | instskip(SKIP_1) | instid1(VALU_DEP_2)
	v_fma_mix_f32 v19, v17, v17, v19 op_sel:[1,1,0] op_sel_hi:[1,1,0]
	v_cvt_f32_f16_e32 v17, v37
	v_fma_mix_f32 v19, v18, v18, v19 op_sel_hi:[1,1,0]
	s_delay_alu instid0(VALU_DEP_1) | instskip(SKIP_1) | instid1(VALU_DEP_2)
	v_fma_mix_f32 v19, v18, v18, v19 op_sel:[1,1,0] op_sel_hi:[1,1,0]
	v_cvt_f32_f16_e32 v18, v35
	v_fma_mix_f32 v19, v31, v31, v19 op_sel_hi:[1,1,0]
	s_delay_alu instid0(VALU_DEP_1) | instskip(SKIP_1) | instid1(VALU_DEP_2)
	v_fma_mix_f32 v19, v31, v31, v19 op_sel:[1,1,0] op_sel_hi:[1,1,0]
	v_lshrrev_b32_e32 v31, 16, v32
	v_fma_mix_f32 v19, v32, v32, v19 op_sel_hi:[1,1,0]
	s_delay_alu instid0(VALU_DEP_1) | instskip(SKIP_1) | instid1(VALU_DEP_2)
	v_fma_mix_f32 v19, v32, v32, v19 op_sel:[1,1,0] op_sel_hi:[1,1,0]
	v_lshrrev_b32_e32 v32, 16, v33
	v_fma_mix_f32 v19, v33, v33, v19 op_sel_hi:[1,1,0]
	s_delay_alu instid0(VALU_DEP_2) | instskip(NEXT) | instid1(VALU_DEP_2)
	v_cvt_f32_f16_e32 v32, v32
	v_fma_mix_f32 v19, v33, v33, v19 op_sel:[1,1,0] op_sel_hi:[1,1,0]
	s_delay_alu instid0(VALU_DEP_1) | instskip(NEXT) | instid1(VALU_DEP_1)
	v_fma_mix_f32 v19, v34, v34, v19 op_sel_hi:[1,1,0]
	v_fma_mix_f32 v19, v34, v34, v19 op_sel:[1,1,0] op_sel_hi:[1,1,0]
	s_delay_alu instid0(VALU_DEP_1) | instskip(NEXT) | instid1(VALU_DEP_1)
	v_fma_mix_f32 v19, v35, v35, v19 op_sel_hi:[1,1,0]
	v_fma_mix_f32 v19, v35, v35, v19 op_sel:[1,1,0] op_sel_hi:[1,1,0]
	v_cvt_f32_f16_e32 v35, v25
	v_cvt_f32_f16_e32 v25, v42
	s_delay_alu instid0(VALU_DEP_3) | instskip(NEXT) | instid1(VALU_DEP_1)
	v_fma_mix_f32 v19, v36, v36, v19 op_sel_hi:[1,1,0]
	v_fma_mix_f32 v19, v36, v36, v19 op_sel:[1,1,0] op_sel_hi:[1,1,0]
	s_delay_alu instid0(VALU_DEP_1) | instskip(NEXT) | instid1(VALU_DEP_1)
	v_fma_mix_f32 v19, v37, v37, v19 op_sel_hi:[1,1,0]
	v_fma_mix_f32 v19, v37, v37, v19 op_sel:[1,1,0] op_sel_hi:[1,1,0]
	v_cvt_f32_f16_e32 v37, v20
	s_delay_alu instid0(VALU_DEP_2) | instskip(SKIP_1) | instid1(VALU_DEP_2)
	v_fma_mix_f32 v15, v38, v38, v19 op_sel_hi:[1,1,0]
	v_cvt_f32_f16_e32 v19, v34
	v_fma_mix_f32 v15, v38, v38, v15 op_sel:[1,1,0] op_sel_hi:[1,1,0]
	s_delay_alu instid0(VALU_DEP_1) | instskip(NEXT) | instid1(VALU_DEP_1)
	v_mov_b32_dpp v16, v15 quad_perm:[1,0,3,2] row_mask:0xf bank_mask:0xf
	v_add_f32_e32 v33, v15, v16
	v_cvt_f32_f16_e32 v15, v38
	v_cvt_f32_f16_e32 v16, v36
	;; [unrolled: 1-line block ×4, first 2 shown]
	v_mov_b32_dpp v34, v33 quad_perm:[2,3,0,1] row_mask:0xf bank_mask:0xf
	s_delay_alu instid0(VALU_DEP_1)
	v_add_f32_e32 v44, v33, v34
	v_cvt_f32_f16_e32 v34, v26
	v_cvt_f32_f16_e32 v33, v31
	;; [unrolled: 1-line block ×4, first 2 shown]
	v_mov_b32_dpp v20, v44 row_xmask:7 row_mask:0xf bank_mask:0xf
	s_delay_alu instid0(VALU_DEP_1)
	v_add_f32_e32 v38, v44, v20
	s_clause 0x2
	buffer_load_b128 v[9:12], v13, s[20:23], 0 offen
	buffer_load_b128 v[5:8], v13, s[20:23], s2 offen
	buffer_load_b128 v[1:4], v13, s[20:23], s1 offen
	v_cvt_f32_f16_e32 v20, v45
	v_mov_b32_dpp v39, v38 row_xmask:15 row_mask:0xf bank_mask:0xf
	v_cmpx_eq_u32_e32 31, v40
	s_cbranch_execz .LBB19_3
; %bb.2:
	v_lshrrev_b32_e32 v40, 3, v0
	s_delay_alu instid0(VALU_DEP_3)
	v_add_f32_e32 v38, v38, v39
	s_mov_b32 s8, 0x76543210
	s_delay_alu instid0(VALU_DEP_1) | instid1(SALU_CYCLE_1)
	v_permlanex16_b32 v39, v38, s8, 0xfedcba98 op_sel:[1,1]
	s_delay_alu instid0(VALU_DEP_1)
	v_dual_add_f32 v38, v38, v39 :: v_dual_and_b32 v39, 0x7c, v40
	ds_store_b32 v39, v38
.LBB19_3:
	s_or_b32 exec_lo, exec_lo, s7
	v_and_b32_e32 v0, 7, v0
	s_waitcnt vmcnt(0) lgkmcnt(0)
	s_barrier
	buffer_gl0_inv
	v_cvt_f32_i32_e32 v39, s6
	v_lshlrev_b32_e32 v0, 2, v0
	ds_load_b32 v0, v0
	s_waitcnt lgkmcnt(0)
	v_mov_b32_dpp v38, v0 quad_perm:[1,0,3,2] row_mask:0xf bank_mask:0xf
	s_delay_alu instid0(VALU_DEP_1) | instskip(NEXT) | instid1(VALU_DEP_1)
	v_add_f32_e32 v0, v0, v38
	v_mov_b32_dpp v38, v0 quad_perm:[2,3,0,1] row_mask:0xf bank_mask:0xf
	s_delay_alu instid0(VALU_DEP_1) | instskip(NEXT) | instid1(VALU_DEP_1)
	v_add_f32_e32 v0, v0, v38
	v_mov_b32_dpp v38, v0 row_xmask:7 row_mask:0xf bank_mask:0xf
	s_delay_alu instid0(VALU_DEP_1) | instskip(NEXT) | instid1(VALU_DEP_1)
	v_add_f32_e32 v0, v0, v38
	v_div_scale_f32 v38, null, v39, v39, v0
	v_div_scale_f32 v42, vcc_lo, v0, v39, v0
	s_delay_alu instid0(VALU_DEP_2) | instskip(SKIP_2) | instid1(VALU_DEP_1)
	v_rcp_f32_e32 v40, v38
	s_waitcnt_depctr 0xfff
	v_fma_f32 v41, -v38, v40, 1.0
	v_fmac_f32_e32 v40, v41, v40
	s_delay_alu instid0(VALU_DEP_1) | instskip(NEXT) | instid1(VALU_DEP_1)
	v_mul_f32_e32 v41, v42, v40
	v_fma_f32 v43, -v38, v41, v42
	s_delay_alu instid0(VALU_DEP_1) | instskip(NEXT) | instid1(VALU_DEP_1)
	v_fmac_f32_e32 v41, v43, v40
	v_fma_f32 v38, -v38, v41, v42
	v_mov_b32_e32 v42, s4
	s_delay_alu instid0(VALU_DEP_2) | instskip(NEXT) | instid1(VALU_DEP_2)
	v_div_fmas_f32 v38, v38, v40, v41
	v_cndmask_b32_e64 v40, s5, v42, s0
	s_and_b32 s0, s0, exec_lo
	s_cselect_b32 s3, s11, s3
	s_cselect_b32 s0, s17, s19
	v_div_fixup_f32 v0, v38, v39, v0
	s_cselect_b32 s6, s16, s18
	s_ashr_i32 s4, s3, 31
	s_mul_hi_u32 s5, s3, s14
	s_mul_i32 s7, s4, s14
	v_add_f32_e32 v0, v40, v0
	s_mul_i32 s4, s3, s14
	s_add_i32 s5, s5, s7
	s_delay_alu instid0(SALU_CYCLE_1) | instskip(NEXT) | instid1(VALU_DEP_1)
	s_lshl_b64 s[4:5], s[4:5], 1
	v_mul_f32_e32 v38, 0x4b800000, v0
	v_cmp_gt_f32_e32 vcc_lo, 0x800000, v0
	s_add_u32 s20, s6, s4
	s_addc_u32 s0, s0, s5
	s_delay_alu instid0(SALU_CYCLE_1) | instskip(SKIP_1) | instid1(VALU_DEP_1)
	s_and_b32 s21, s0, 0xffff
	v_cndmask_b32_e32 v0, v0, v38, vcc_lo
	v_rsq_f32_e32 v0, v0
	s_waitcnt_depctr 0xfff
	v_mul_f32_e32 v38, 0x45800000, v0
	s_delay_alu instid0(VALU_DEP_1) | instskip(NEXT) | instid1(VALU_DEP_1)
	v_cndmask_b32_e32 v0, v0, v38, vcc_lo
	v_mul_f32_e32 v23, v0, v23
	v_mul_f32_e32 v38, v0, v14
	;; [unrolled: 1-line block ×24, first 2 shown]
	v_fma_mixlo_f16 v14, v14, v9, 0 op_sel_hi:[0,1,0]
	v_fma_mixlo_f16 v15, v28, v10, 0 op_sel_hi:[0,1,0]
	;; [unrolled: 1-line block ×12, first 2 shown]
	v_fma_mixhi_f16 v17, v35, v12, 0 op_sel:[0,1,0] op_sel_hi:[0,1,0]
	v_fma_mixhi_f16 v16, v36, v11, 0 op_sel:[0,1,0] op_sel_hi:[0,1,0]
	;; [unrolled: 1-line block ×12, first 2 shown]
	buffer_store_b128 v[14:17], v13, s[20:23], 0 offen
	;;#ASMSTART
	s_nop 0
	;;#ASMEND
	buffer_store_b128 v[18:21], v13, s[20:23], s2 offen
	;;#ASMSTART
	s_nop 0
	;;#ASMEND
	;; [unrolled: 4-line block ×3, first 2 shown]
.LBB19_4:
	s_nop 0
	s_sendmsg sendmsg(MSG_DEALLOC_VGPRS)
	s_endpgm
	.section	.rodata,"a",@progbits
	.p2align	6, 0x0
	.amdhsa_kernel _ZN5aiter23fused_qk_rmsnorm_kernelIDF16_Li256ELi24ELb1ELi1EEEvPT_S2_PKS1_S4_S4_S4_ffiiiiiii
		.amdhsa_group_segment_fixed_size 32
		.amdhsa_private_segment_fixed_size 0
		.amdhsa_kernarg_size 84
		.amdhsa_user_sgpr_count 14
		.amdhsa_user_sgpr_dispatch_ptr 0
		.amdhsa_user_sgpr_queue_ptr 0
		.amdhsa_user_sgpr_kernarg_segment_ptr 1
		.amdhsa_user_sgpr_dispatch_id 0
		.amdhsa_user_sgpr_private_segment_size 0
		.amdhsa_wavefront_size32 1
		.amdhsa_uses_dynamic_stack 0
		.amdhsa_enable_private_segment 0
		.amdhsa_system_sgpr_workgroup_id_x 1
		.amdhsa_system_sgpr_workgroup_id_y 1
		.amdhsa_system_sgpr_workgroup_id_z 0
		.amdhsa_system_sgpr_workgroup_info 0
		.amdhsa_system_vgpr_workitem_id 0
		.amdhsa_next_free_vgpr 46
		.amdhsa_next_free_sgpr 28
		.amdhsa_reserve_vcc 1
		.amdhsa_float_round_mode_32 0
		.amdhsa_float_round_mode_16_64 0
		.amdhsa_float_denorm_mode_32 3
		.amdhsa_float_denorm_mode_16_64 3
		.amdhsa_dx10_clamp 1
		.amdhsa_ieee_mode 1
		.amdhsa_fp16_overflow 0
		.amdhsa_workgroup_processor_mode 1
		.amdhsa_memory_ordered 1
		.amdhsa_forward_progress 0
		.amdhsa_shared_vgpr_count 0
		.amdhsa_exception_fp_ieee_invalid_op 0
		.amdhsa_exception_fp_denorm_src 0
		.amdhsa_exception_fp_ieee_div_zero 0
		.amdhsa_exception_fp_ieee_overflow 0
		.amdhsa_exception_fp_ieee_underflow 0
		.amdhsa_exception_fp_ieee_inexact 0
		.amdhsa_exception_int_div_zero 0
	.end_amdhsa_kernel
	.section	.text._ZN5aiter23fused_qk_rmsnorm_kernelIDF16_Li256ELi24ELb1ELi1EEEvPT_S2_PKS1_S4_S4_S4_ffiiiiiii,"axG",@progbits,_ZN5aiter23fused_qk_rmsnorm_kernelIDF16_Li256ELi24ELb1ELi1EEEvPT_S2_PKS1_S4_S4_S4_ffiiiiiii,comdat
.Lfunc_end19:
	.size	_ZN5aiter23fused_qk_rmsnorm_kernelIDF16_Li256ELi24ELb1ELi1EEEvPT_S2_PKS1_S4_S4_S4_ffiiiiiii, .Lfunc_end19-_ZN5aiter23fused_qk_rmsnorm_kernelIDF16_Li256ELi24ELb1ELi1EEEvPT_S2_PKS1_S4_S4_S4_ffiiiiiii
                                        ; -- End function
	.section	.AMDGPU.csdata,"",@progbits
; Kernel info:
; codeLenInByte = 1504
; NumSgprs: 30
; NumVgprs: 46
; ScratchSize: 0
; MemoryBound: 0
; FloatMode: 240
; IeeeMode: 1
; LDSByteSize: 32 bytes/workgroup (compile time only)
; SGPRBlocks: 3
; VGPRBlocks: 5
; NumSGPRsForWavesPerEU: 30
; NumVGPRsForWavesPerEU: 46
; Occupancy: 16
; WaveLimiterHint : 0
; COMPUTE_PGM_RSRC2:SCRATCH_EN: 0
; COMPUTE_PGM_RSRC2:USER_SGPR: 14
; COMPUTE_PGM_RSRC2:TRAP_HANDLER: 0
; COMPUTE_PGM_RSRC2:TGID_X_EN: 1
; COMPUTE_PGM_RSRC2:TGID_Y_EN: 1
; COMPUTE_PGM_RSRC2:TGID_Z_EN: 0
; COMPUTE_PGM_RSRC2:TIDIG_COMP_CNT: 0
	.section	.text._ZN5aiter23fused_qk_rmsnorm_kernelItLi256ELi24ELb1ELi1EEEvPT_S2_PKS1_S4_S4_S4_ffiiiiiii,"axG",@progbits,_ZN5aiter23fused_qk_rmsnorm_kernelItLi256ELi24ELb1ELi1EEEvPT_S2_PKS1_S4_S4_S4_ffiiiiiii,comdat
	.protected	_ZN5aiter23fused_qk_rmsnorm_kernelItLi256ELi24ELb1ELi1EEEvPT_S2_PKS1_S4_S4_S4_ffiiiiiii ; -- Begin function _ZN5aiter23fused_qk_rmsnorm_kernelItLi256ELi24ELb1ELi1EEEvPT_S2_PKS1_S4_S4_S4_ffiiiiiii
	.globl	_ZN5aiter23fused_qk_rmsnorm_kernelItLi256ELi24ELb1ELi1EEEvPT_S2_PKS1_S4_S4_S4_ffiiiiiii
	.p2align	8
	.type	_ZN5aiter23fused_qk_rmsnorm_kernelItLi256ELi24ELb1ELi1EEEvPT_S2_PKS1_S4_S4_S4_ffiiiiiii,@function
_ZN5aiter23fused_qk_rmsnorm_kernelItLi256ELi24ELb1ELi1EEEvPT_S2_PKS1_S4_S4_S4_ffiiiiiii: ; @_ZN5aiter23fused_qk_rmsnorm_kernelItLi256ELi24ELb1ELi1EEEvPT_S2_PKS1_S4_S4_S4_ffiiiiiii
; %bb.0:
	s_load_b256 s[4:11], s[0:1], 0x30
	s_mov_b32 s2, s15
	s_mov_b32 s15, 0
	s_waitcnt lgkmcnt(0)
	s_ashr_i32 s13, s6, 31
	s_mov_b32 s12, s6
	s_delay_alu instid0(SALU_CYCLE_1) | instskip(NEXT) | instid1(VALU_DEP_1)
	v_cmp_ge_i64_e64 s3, s[14:15], s[12:13]
	s_and_b32 vcc_lo, exec_lo, s3
	s_cbranch_vccnz .LBB20_4
; %bb.1:
	s_clause 0x2
	s_load_b256 s[16:23], s[0:1], 0x0
	s_load_b128 s[24:27], s[0:1], 0x20
	s_load_b32 s3, s[0:1], 0x50
	s_cmp_eq_u32 s2, 0
	v_and_b32_e32 v2, 0x3e0, v0
	s_cselect_b32 s0, -1, 0
	v_lshlrev_b32_e32 v1, 3, v0
	s_and_b32 s1, s0, exec_lo
	s_cselect_b32 s1, s9, s10
	s_cselect_b32 s6, s7, s8
	s_mul_hi_u32 s9, s1, s14
	v_mul_u32_u24_e32 v2, 24, v2
	v_and_b32_e32 v40, 31, v0
	s_delay_alu instid0(VALU_DEP_2)
	v_and_or_b32 v1, 0xf8, v1, v2
	s_waitcnt lgkmcnt(0)
	s_cselect_b32 s2, s21, s23
	s_cselect_b32 s7, s20, s22
	;; [unrolled: 1-line block ×4, first 2 shown]
	s_ashr_i32 s8, s1, 31
	v_lshlrev_b32_e32 v13, 1, v1
	s_mul_i32 s12, s8, s14
	s_mul_i32 s8, s1, s14
	s_add_i32 s9, s9, s12
	s_mov_b32 s23, -1
	s_lshl_b64 s[8:9], s[8:9], 1
	s_mov_b32 s27, s23
	s_add_u32 s24, s7, s8
	s_addc_u32 s1, s2, s9
	s_add_i32 s2, s6, 1
	s_and_b32 s25, s1, 0xffff
	s_lshr_b32 s7, s2, 31
	s_movk_i32 s1, 0x400
	s_add_i32 s2, s2, s7
	s_and_b32 s21, s10, 0xffff
	s_lshl_b32 s2, s2, 1
	s_mov_b32 s7, exec_lo
	s_and_b32 s22, s2, -4
	s_movk_i32 s2, 0x200
	s_mov_b32 s26, s22
	s_clause 0x1
	buffer_load_b128 v[18:21], v13, s[24:27], 0 offen glc slc
	buffer_load_b128 v[34:37], v13, s[24:27], s1 offen glc slc
	s_waitcnt vmcnt(1)
	v_and_b32_e32 v14, 0xffff0000, v18
	v_lshlrev_b32_e32 v16, 16, v19
	v_lshlrev_b32_e32 v15, 16, v18
	;; [unrolled: 1-line block ×3, first 2 shown]
	s_delay_alu instid0(VALU_DEP_4) | instskip(SKIP_3) | instid1(VALU_DEP_4)
	v_dual_mul_f32 v38, v14, v14 :: v_dual_and_b32 v17, 0xffff0000, v19
	v_and_b32_e32 v20, 0xffff0000, v20
	v_lshlrev_b32_e32 v22, 16, v21
	v_and_b32_e32 v24, 0xffff0000, v21
	v_fmac_f32_e32 v38, v15, v15
	buffer_load_b128 v[26:29], v13, s[24:27], s2 offen glc slc
	s_clause 0x2
	buffer_load_b128 v[9:12], v13, s[20:23], 0 offen
	buffer_load_b128 v[5:8], v13, s[20:23], s2 offen
	;; [unrolled: 1-line block ×3, first 2 shown]
	v_fmac_f32_e32 v38, v16, v16
	s_waitcnt vmcnt(3)
	s_delay_alu instid0(VALU_DEP_1) | instskip(NEXT) | instid1(VALU_DEP_1)
	v_dual_fmac_f32 v38, v17, v17 :: v_dual_lshlrev_b32 v19, 16, v26
	v_fmac_f32_e32 v38, v18, v18
	v_and_b32_e32 v21, 0xffff0000, v26
	v_lshlrev_b32_e32 v30, 16, v29
	v_and_b32_e32 v32, 0xffff0000, v29
	s_delay_alu instid0(VALU_DEP_4)
	v_dual_fmac_f32 v38, v20, v20 :: v_dual_lshlrev_b32 v23, 16, v27
	v_lshlrev_b32_e32 v26, 16, v28
	v_and_b32_e32 v28, 0xffff0000, v28
	v_and_b32_e32 v25, 0xffff0000, v27
	v_lshlrev_b32_e32 v27, 16, v34
	v_fmac_f32_e32 v38, v22, v22
	v_and_b32_e32 v29, 0xffff0000, v34
	v_lshlrev_b32_e32 v31, 16, v35
	v_lshlrev_b32_e32 v34, 16, v36
	s_delay_alu instid0(VALU_DEP_4) | instskip(SKIP_2) | instid1(VALU_DEP_3)
	v_dual_fmac_f32 v38, v24, v24 :: v_dual_and_b32 v33, 0xffff0000, v35
	v_and_b32_e32 v35, 0xffff0000, v36
	v_lshlrev_b32_e32 v36, 16, v37
	v_dual_fmac_f32 v38, v19, v19 :: v_dual_and_b32 v37, 0xffff0000, v37
	s_delay_alu instid0(VALU_DEP_1) | instskip(NEXT) | instid1(VALU_DEP_1)
	v_fmac_f32_e32 v38, v21, v21
	v_fmac_f32_e32 v38, v23, v23
	s_delay_alu instid0(VALU_DEP_1) | instskip(NEXT) | instid1(VALU_DEP_1)
	v_fmac_f32_e32 v38, v25, v25
	v_fmac_f32_e32 v38, v26, v26
	s_delay_alu instid0(VALU_DEP_1) | instskip(NEXT) | instid1(VALU_DEP_1)
	v_fmac_f32_e32 v38, v28, v28
	v_fmac_f32_e32 v38, v30, v30
	s_delay_alu instid0(VALU_DEP_1) | instskip(NEXT) | instid1(VALU_DEP_1)
	v_fmac_f32_e32 v38, v32, v32
	v_fmac_f32_e32 v38, v27, v27
	s_delay_alu instid0(VALU_DEP_1) | instskip(NEXT) | instid1(VALU_DEP_1)
	v_fmac_f32_e32 v38, v29, v29
	v_fmac_f32_e32 v38, v31, v31
	s_delay_alu instid0(VALU_DEP_1) | instskip(NEXT) | instid1(VALU_DEP_1)
	v_fmac_f32_e32 v38, v33, v33
	v_fmac_f32_e32 v38, v34, v34
	s_delay_alu instid0(VALU_DEP_1) | instskip(NEXT) | instid1(VALU_DEP_1)
	v_fmac_f32_e32 v38, v35, v35
	v_fmac_f32_e32 v38, v36, v36
	s_delay_alu instid0(VALU_DEP_1) | instskip(NEXT) | instid1(VALU_DEP_1)
	v_fmac_f32_e32 v38, v37, v37
	v_mov_b32_dpp v39, v38 quad_perm:[1,0,3,2] row_mask:0xf bank_mask:0xf
	s_delay_alu instid0(VALU_DEP_1) | instskip(NEXT) | instid1(VALU_DEP_1)
	v_add_f32_e32 v38, v38, v39
	v_mov_b32_dpp v39, v38 quad_perm:[2,3,0,1] row_mask:0xf bank_mask:0xf
	s_delay_alu instid0(VALU_DEP_1) | instskip(NEXT) | instid1(VALU_DEP_1)
	v_add_f32_e32 v38, v38, v39
	v_mov_b32_dpp v39, v38 row_xmask:7 row_mask:0xf bank_mask:0xf
	s_delay_alu instid0(VALU_DEP_1) | instskip(NEXT) | instid1(VALU_DEP_1)
	v_add_f32_e32 v38, v38, v39
	v_mov_b32_dpp v39, v38 row_xmask:15 row_mask:0xf bank_mask:0xf
	v_cmpx_eq_u32_e32 31, v40
	s_cbranch_execz .LBB20_3
; %bb.2:
	v_lshrrev_b32_e32 v40, 3, v0
	s_delay_alu instid0(VALU_DEP_3)
	v_add_f32_e32 v38, v38, v39
	s_mov_b32 s8, 0x76543210
	s_delay_alu instid0(VALU_DEP_1) | instid1(SALU_CYCLE_1)
	v_permlanex16_b32 v39, v38, s8, 0xfedcba98 op_sel:[1,1]
	s_delay_alu instid0(VALU_DEP_1)
	v_dual_add_f32 v38, v38, v39 :: v_dual_and_b32 v39, 0x7c, v40
	ds_store_b32 v39, v38
.LBB20_3:
	s_or_b32 exec_lo, exec_lo, s7
	v_dual_mov_b32 v41, s4 :: v_dual_and_b32 v0, 7, v0
	s_waitcnt vmcnt(2)
	v_lshrrev_b32_e32 v42, 16, v9
	v_and_b32_e32 v9, 0xffff, v9
	s_waitcnt vmcnt(0) lgkmcnt(0)
	s_barrier
	buffer_gl0_inv
	v_lshrrev_b32_e32 v44, 16, v11
	v_cvt_f32_u32_e32 v9, v9
	v_lshlrev_b32_e32 v0, 2, v0
	v_cvt_f32_i32_e32 v39, s6
	v_lshrrev_b32_e32 v43, 16, v10
	v_lshrrev_b32_e32 v50, 16, v7
	;; [unrolled: 1-line block ×3, first 2 shown]
	ds_load_b32 v0, v0
	v_lshrrev_b32_e32 v54, 16, v2
	v_lshrrev_b32_e32 v46, 16, v12
	;; [unrolled: 1-line block ×5, first 2 shown]
	s_and_b32 s6, s0, exec_lo
	s_cselect_b32 s3, s11, s3
	s_cselect_b32 s6, s17, s19
	;; [unrolled: 1-line block ×3, first 2 shown]
	s_ashr_i32 s8, s3, 31
	s_mul_i32 s4, s3, s14
	s_mul_i32 s8, s8, s14
	v_and_b32_e32 v11, 0xffff, v11
	s_delay_alu instid0(VALU_DEP_1) | instskip(SKIP_2) | instid1(VALU_DEP_1)
	v_cvt_f32_u32_e32 v11, v11
	s_waitcnt lgkmcnt(0)
	v_mov_b32_dpp v38, v0 quad_perm:[1,0,3,2] row_mask:0xf bank_mask:0xf
	v_add_f32_e32 v0, v0, v38
	s_delay_alu instid0(VALU_DEP_1) | instskip(NEXT) | instid1(VALU_DEP_1)
	v_mov_b32_dpp v38, v0 quad_perm:[2,3,0,1] row_mask:0xf bank_mask:0xf
	v_add_f32_e32 v0, v0, v38
	s_delay_alu instid0(VALU_DEP_1) | instskip(NEXT) | instid1(VALU_DEP_1)
	v_mov_b32_dpp v38, v0 row_xmask:7 row_mask:0xf bank_mask:0xf
	v_add_f32_e32 v0, v0, v38
	s_delay_alu instid0(VALU_DEP_1) | instskip(SKIP_1) | instid1(VALU_DEP_2)
	v_div_scale_f32 v38, null, v39, v39, v0
	v_div_scale_f32 v47, vcc_lo, v0, v39, v0
	v_rcp_f32_e32 v40, v38
	s_waitcnt_depctr 0xfff
	v_fma_f32 v45, -v38, v40, 1.0
	s_delay_alu instid0(VALU_DEP_1) | instskip(SKIP_2) | instid1(VALU_DEP_3)
	v_fmac_f32_e32 v40, v45, v40
	v_lshrrev_b32_e32 v45, 16, v5
	v_and_b32_e32 v5, 0xffff, v5
	v_mul_f32_e32 v49, v47, v40
	s_delay_alu instid0(VALU_DEP_2) | instskip(NEXT) | instid1(VALU_DEP_2)
	v_cvt_f32_u32_e32 v5, v5
	v_fma_f32 v52, -v38, v49, v47
	s_delay_alu instid0(VALU_DEP_1) | instskip(SKIP_1) | instid1(VALU_DEP_2)
	v_dual_fmac_f32 v49, v52, v40 :: v_dual_and_b32 v10, 0xffff, v10
	v_lshrrev_b32_e32 v52, 16, v3
	v_cvt_f32_u32_e32 v10, v10
	s_delay_alu instid0(VALU_DEP_3) | instskip(SKIP_1) | instid1(VALU_DEP_2)
	v_fma_f32 v38, -v38, v49, v47
	v_cvt_f32_u32_e32 v47, v54
	v_div_fmas_f32 v38, v38, v40, v49
	v_cndmask_b32_e64 v40, s5, v41, s0
	s_mul_hi_u32 s0, s3, s14
	s_delay_alu instid0(SALU_CYCLE_1) | instskip(NEXT) | instid1(VALU_DEP_2)
	s_add_i32 s5, s0, s8
	v_div_fixup_f32 v0, v38, v39, v0
	v_and_b32_e32 v7, 0xffff, v7
	v_cvt_f32_u32_e32 v39, v43
	v_cvt_f32_u32_e32 v43, v48
	v_cvt_f32_u32_e32 v38, v42
	v_add_f32_e32 v0, v40, v0
	v_cvt_f32_u32_e32 v40, v44
	v_cvt_f32_u32_e32 v42, v46
	;; [unrolled: 1-line block ×4, first 2 shown]
	v_cmp_gt_f32_e32 vcc_lo, 0x800000, v0
	v_mul_f32_e32 v41, 0x4b800000, v0
	v_and_b32_e32 v3, 0xffff, v3
	v_cvt_f32_u32_e32 v46, v53
	v_cvt_f32_u32_e32 v48, v52
	;; [unrolled: 1-line block ×3, first 2 shown]
	v_cndmask_b32_e32 v0, v0, v41, vcc_lo
	v_cvt_f32_u32_e32 v41, v45
	v_cvt_f32_u32_e32 v45, v51
	;; [unrolled: 1-line block ×3, first 2 shown]
	s_lshl_b64 s[4:5], s[4:5], 1
	v_rsq_f32_e32 v0, v0
	s_add_u32 s20, s7, s4
	s_addc_u32 s0, s6, s5
	s_delay_alu instid0(SALU_CYCLE_1) | instskip(SKIP_2) | instid1(VALU_DEP_1)
	s_and_b32 s21, s0, 0xffff
	s_waitcnt_depctr 0xfff
	v_mul_f32_e32 v49, 0x45800000, v0
	v_cndmask_b32_e32 v0, v0, v49, vcc_lo
	v_and_b32_e32 v12, 0xffff, v12
	v_and_b32_e32 v6, 0xffff, v6
	;; [unrolled: 1-line block ×3, first 2 shown]
	s_delay_alu instid0(VALU_DEP_4)
	v_dual_mul_f32 v21, v0, v21 :: v_dual_and_b32 v4, 0xffff, v4
	v_mul_f32_e32 v18, v0, v18
	v_mul_f32_e32 v17, v0, v17
	;; [unrolled: 1-line block ×8, first 2 shown]
	v_dual_mul_f32 v24, v0, v24 :: v_dual_and_b32 v1, 0xffff, v1
	v_dual_mul_f32 v23, v0, v23 :: v_dual_and_b32 v2, 0xffff, v2
	v_cvt_f32_u32_e32 v12, v12
	v_cvt_f32_u32_e32 v8, v8
	v_dual_mul_f32 v22, v0, v22 :: v_dual_mul_f32 v9, v15, v9
	v_dual_mul_f32 v10, v16, v10 :: v_dual_mul_f32 v15, v17, v39
	v_mul_f32_e32 v16, v20, v40
	v_mul_f32_e32 v20, v25, v43
	v_dual_mul_f32 v30, v0, v30 :: v_dual_mul_f32 v25, v33, v47
	v_mul_f32_e32 v14, v0, v14
	v_mul_f32_e32 v19, v0, v19
	v_cvt_f32_u32_e32 v6, v6
	v_cvt_f32_u32_e32 v1, v1
	v_cvt_f32_u32_e32 v2, v2
	v_cvt_f32_u32_e32 v4, v4
	v_mul_f32_e32 v32, v0, v32
	v_dual_mul_f32 v37, v0, v37 :: v_dual_mul_f32 v12, v22, v12
	v_mul_f32_e32 v36, v0, v36
	v_dual_mul_f32 v35, v0, v35 :: v_dual_mul_f32 v18, v19, v5
	v_mul_f32_e32 v26, v0, v26
	v_mul_f32_e32 v34, v0, v34
	;; [unrolled: 1-line block ×10, first 2 shown]
	v_dual_mul_f32 v22, v0, v1 :: v_dual_mul_f32 v27, v35, v48
	v_mul_f32_e32 v6, v26, v7
	v_mul_f32_e32 v26, v34, v3
	;; [unrolled: 1-line block ×4, first 2 shown]
	v_dual_mul_f32 v8, v32, v45 :: v_dual_mul_f32 v23, v29, v46
	v_mul_f32_e32 v21, v28, v44
	v_dual_mul_f32 v29, v37, v50 :: v_dual_mul_f32 v28, v36, v4
	v_perm_b32 v3, v17, v12, 0x7060302
	v_perm_b32 v2, v16, v11, 0x7060302
	;; [unrolled: 1-line block ×12, first 2 shown]
	buffer_store_b128 v[0:3], v13, s[20:23], 0 offen
	;;#ASMSTART
	s_nop 0
	;;#ASMEND
	buffer_store_b128 v[4:7], v13, s[20:23], s2 offen
	;;#ASMSTART
	s_nop 0
	;;#ASMEND
	;; [unrolled: 4-line block ×3, first 2 shown]
.LBB20_4:
	s_nop 0
	s_sendmsg sendmsg(MSG_DEALLOC_VGPRS)
	s_endpgm
	.section	.rodata,"a",@progbits
	.p2align	6, 0x0
	.amdhsa_kernel _ZN5aiter23fused_qk_rmsnorm_kernelItLi256ELi24ELb1ELi1EEEvPT_S2_PKS1_S4_S4_S4_ffiiiiiii
		.amdhsa_group_segment_fixed_size 32
		.amdhsa_private_segment_fixed_size 0
		.amdhsa_kernarg_size 84
		.amdhsa_user_sgpr_count 14
		.amdhsa_user_sgpr_dispatch_ptr 0
		.amdhsa_user_sgpr_queue_ptr 0
		.amdhsa_user_sgpr_kernarg_segment_ptr 1
		.amdhsa_user_sgpr_dispatch_id 0
		.amdhsa_user_sgpr_private_segment_size 0
		.amdhsa_wavefront_size32 1
		.amdhsa_uses_dynamic_stack 0
		.amdhsa_enable_private_segment 0
		.amdhsa_system_sgpr_workgroup_id_x 1
		.amdhsa_system_sgpr_workgroup_id_y 1
		.amdhsa_system_sgpr_workgroup_id_z 0
		.amdhsa_system_sgpr_workgroup_info 0
		.amdhsa_system_vgpr_workitem_id 0
		.amdhsa_next_free_vgpr 56
		.amdhsa_next_free_sgpr 28
		.amdhsa_reserve_vcc 1
		.amdhsa_float_round_mode_32 0
		.amdhsa_float_round_mode_16_64 0
		.amdhsa_float_denorm_mode_32 3
		.amdhsa_float_denorm_mode_16_64 3
		.amdhsa_dx10_clamp 1
		.amdhsa_ieee_mode 1
		.amdhsa_fp16_overflow 0
		.amdhsa_workgroup_processor_mode 1
		.amdhsa_memory_ordered 1
		.amdhsa_forward_progress 0
		.amdhsa_shared_vgpr_count 0
		.amdhsa_exception_fp_ieee_invalid_op 0
		.amdhsa_exception_fp_denorm_src 0
		.amdhsa_exception_fp_ieee_div_zero 0
		.amdhsa_exception_fp_ieee_overflow 0
		.amdhsa_exception_fp_ieee_underflow 0
		.amdhsa_exception_fp_ieee_inexact 0
		.amdhsa_exception_int_div_zero 0
	.end_amdhsa_kernel
	.section	.text._ZN5aiter23fused_qk_rmsnorm_kernelItLi256ELi24ELb1ELi1EEEvPT_S2_PKS1_S4_S4_S4_ffiiiiiii,"axG",@progbits,_ZN5aiter23fused_qk_rmsnorm_kernelItLi256ELi24ELb1ELi1EEEvPT_S2_PKS1_S4_S4_S4_ffiiiiiii,comdat
.Lfunc_end20:
	.size	_ZN5aiter23fused_qk_rmsnorm_kernelItLi256ELi24ELb1ELi1EEEvPT_S2_PKS1_S4_S4_S4_ffiiiiiii, .Lfunc_end20-_ZN5aiter23fused_qk_rmsnorm_kernelItLi256ELi24ELb1ELi1EEEvPT_S2_PKS1_S4_S4_S4_ffiiiiiii
                                        ; -- End function
	.section	.AMDGPU.csdata,"",@progbits
; Kernel info:
; codeLenInByte = 1712
; NumSgprs: 30
; NumVgprs: 56
; ScratchSize: 0
; MemoryBound: 0
; FloatMode: 240
; IeeeMode: 1
; LDSByteSize: 32 bytes/workgroup (compile time only)
; SGPRBlocks: 3
; VGPRBlocks: 6
; NumSGPRsForWavesPerEU: 30
; NumVGPRsForWavesPerEU: 56
; Occupancy: 16
; WaveLimiterHint : 0
; COMPUTE_PGM_RSRC2:SCRATCH_EN: 0
; COMPUTE_PGM_RSRC2:USER_SGPR: 14
; COMPUTE_PGM_RSRC2:TRAP_HANDLER: 0
; COMPUTE_PGM_RSRC2:TGID_X_EN: 1
; COMPUTE_PGM_RSRC2:TGID_Y_EN: 1
; COMPUTE_PGM_RSRC2:TGID_Z_EN: 0
; COMPUTE_PGM_RSRC2:TIDIG_COMP_CNT: 0
	.section	.text._ZN5aiter23fused_qk_rmsnorm_kernelIDF16_Li256ELi32ELb1ELi2EEEvPT_S2_PKS1_S4_S4_S4_ffiiiiiii,"axG",@progbits,_ZN5aiter23fused_qk_rmsnorm_kernelIDF16_Li256ELi32ELb1ELi2EEEvPT_S2_PKS1_S4_S4_S4_ffiiiiiii,comdat
	.protected	_ZN5aiter23fused_qk_rmsnorm_kernelIDF16_Li256ELi32ELb1ELi2EEEvPT_S2_PKS1_S4_S4_S4_ffiiiiiii ; -- Begin function _ZN5aiter23fused_qk_rmsnorm_kernelIDF16_Li256ELi32ELb1ELi2EEEvPT_S2_PKS1_S4_S4_S4_ffiiiiiii
	.globl	_ZN5aiter23fused_qk_rmsnorm_kernelIDF16_Li256ELi32ELb1ELi2EEEvPT_S2_PKS1_S4_S4_S4_ffiiiiiii
	.p2align	8
	.type	_ZN5aiter23fused_qk_rmsnorm_kernelIDF16_Li256ELi32ELb1ELi2EEEvPT_S2_PKS1_S4_S4_S4_ffiiiiiii,@function
_ZN5aiter23fused_qk_rmsnorm_kernelIDF16_Li256ELi32ELb1ELi2EEEvPT_S2_PKS1_S4_S4_S4_ffiiiiiii: ; @_ZN5aiter23fused_qk_rmsnorm_kernelIDF16_Li256ELi32ELb1ELi2EEEvPT_S2_PKS1_S4_S4_S4_ffiiiiiii
; %bb.0:
	s_load_b256 s[4:11], s[0:1], 0x30
	s_mov_b32 s2, s14
	s_mov_b32 s3, 0
	s_delay_alu instid0(SALU_CYCLE_1) | instskip(SKIP_3) | instid1(SALU_CYCLE_1)
	s_lshl_b64 s[2:3], s[2:3], 1
	s_waitcnt lgkmcnt(0)
	s_ashr_i32 s13, s6, 31
	s_mov_b32 s12, s6
	v_cmp_ge_i64_e64 s6, s[2:3], s[12:13]
	s_delay_alu instid0(VALU_DEP_1)
	s_and_b32 vcc_lo, exec_lo, s6
	s_cbranch_vccnz .LBB21_9
; %bb.1:
	s_clause 0x2
	s_load_b256 s[16:23], s[0:1], 0x0
	s_load_b128 s[24:27], s[0:1], 0x20
	s_load_b32 s0, s[0:1], 0x50
	s_cmp_eq_u32 s15, 0
	v_dual_mov_b32 v1, s4 :: v_dual_lshlrev_b32 v2, 6, v0
	s_cselect_b32 vcc_lo, -1, 0
	v_and_b32_e32 v35, 31, v0
	s_and_b32 s1, vcc_lo, exec_lo
	s_cselect_b32 s28, s9, s10
	v_cndmask_b32_e32 v33, s5, v1, vcc_lo
	s_cselect_b32 s30, s7, s8
	s_mul_i32 s7, s3, s28
	v_lshlrev_b32_e32 v1, 4, v0
	v_and_b32_e32 v2, 0xf800, v2
	v_and_b32_e32 v37, 7, v0
	v_lshrrev_b32_e32 v36, 3, v0
	s_delay_alu instid0(VALU_DEP_3)
	v_and_or_b32 v34, 0x1f0, v1, v2
	s_waitcnt lgkmcnt(0)
	s_cselect_b32 s5, s21, s23
	s_cselect_b32 s8, s20, s22
	;; [unrolled: 1-line block ×7, first 2 shown]
	s_ashr_i32 s29, s28, 31
	s_mul_hi_u32 s0, s2, s28
	s_mul_i32 s6, s2, s29
	s_movk_i32 s16, 0x200
	s_add_i32 s0, s0, s6
	s_mul_i32 s6, s2, s28
	s_add_i32 s7, s0, s7
	s_movk_i32 s17, 0x400
	s_lshl_b64 s[6:7], s[6:7], 1
	s_movk_i32 s18, 0x600
	s_add_u32 s8, s8, s6
	s_addc_u32 s20, s5, s7
	s_add_i32 s0, s30, 1
	s_mov_b32 s7, -1
	s_lshr_b32 s5, s0, 31
	s_mov_b32 s11, s7
	s_add_i32 s0, s0, s5
	s_and_b32 s5, s9, 0xffff
	s_lshl_b32 s0, s0, 1
	s_and_b32 s9, s20, 0xffff
	s_and_b32 s6, s0, -4
	v_cmp_eq_u32_e64 s0, 31, v35
	s_clause 0x3
	buffer_load_b128 v[17:20], v34, s[4:7], 0 offen
	buffer_load_b128 v[21:24], v34, s[4:7], s16 offen
	;; [unrolled: 1-line block ×4, first 2 shown]
	s_mov_b32 s10, s6
	s_clause 0x3
	buffer_load_b128 v[13:16], v34, s[8:11], 0 offen glc slc
	buffer_load_b128 v[9:12], v34, s[8:11], s16 offen glc slc
	;; [unrolled: 1-line block ×4, first 2 shown]
	v_lshlrev_b32_e32 v35, 2, v37
	s_mov_b32 s5, s3
	s_or_b32 s4, s2, 1
	s_lshl_b64 s[10:11], s[28:29], 1
	v_cmp_lt_u64_e64 s19, s[4:5], s[12:13]
	v_and_b32_e32 v0, 0x7c, v36
	v_cvt_f32_i32_e32 v36, s30
	s_add_u32 s8, s8, s10
	s_addc_u32 s4, s20, s11
	s_mov_b64 s[10:11], s[6:7]
	s_ashr_i32 s20, s15, 31
	s_and_b32 s9, s4, 0xffff
	s_mov_b64 s[4:5], 0
	s_mov_b32 s21, 0x76543210
	s_mov_b32 s22, s7
	s_waitcnt vmcnt(7)
	v_cvt_f32_f16_e32 v37, v17
	v_lshrrev_b32_e32 v17, 16, v17
	v_cvt_f32_f16_e32 v38, v18
	v_lshrrev_b32_e32 v18, 16, v18
	v_cvt_f32_f16_e32 v39, v19
	v_lshrrev_b32_e32 v19, 16, v19
	v_cvt_f32_f16_e32 v40, v20
	v_lshrrev_b32_e32 v20, 16, v20
	s_waitcnt vmcnt(6)
	v_cvt_f32_f16_e32 v41, v21
	v_lshrrev_b32_e32 v21, 16, v21
	v_cvt_f32_f16_e32 v42, v22
	v_lshrrev_b32_e32 v22, 16, v22
	v_cvt_f32_f16_e32 v43, v23
	v_lshrrev_b32_e32 v23, 16, v23
	v_cvt_f32_f16_e32 v44, v24
	v_lshrrev_b32_e32 v24, 16, v24
	;; [unrolled: 9-line block ×4, first 2 shown]
	v_cvt_f32_f16_e32 v53, v17
	v_cvt_f32_f16_e32 v54, v18
	;; [unrolled: 1-line block ×16, first 2 shown]
	s_branch .LBB21_4
.LBB21_2:                               ;   in Loop: Header=BB21_4 Depth=1
	s_or_b32 exec_lo, exec_lo, s24
	s_waitcnt vmcnt(0) lgkmcnt(0)
	s_waitcnt_vscnt null, 0x0
	s_barrier
	buffer_gl0_inv
	ds_load_b32 v70, v35
	v_lshrrev_b32_e32 v85, 16, v4
	v_cvt_f32_f16_e32 v86, v4
	v_lshrrev_b32_e32 v74, 16, v14
	v_lshrrev_b32_e32 v76, 16, v16
	;; [unrolled: 1-line block ×7, first 2 shown]
	v_cvt_f32_f16_e32 v13, v13
	v_cvt_f32_f16_e32 v14, v14
	;; [unrolled: 1-line block ×4, first 2 shown]
	s_mul_i32 s24, s4, s20
	s_mul_hi_u32 s25, s4, s15
	s_mul_i32 s5, s5, s15
	s_add_i32 s24, s25, s24
	s_mul_i32 s4, s4, s15
	s_add_i32 s5, s24, s5
	s_waitcnt lgkmcnt(0)
	v_mov_b32_dpp v71, v70 quad_perm:[1,0,3,2] row_mask:0xf bank_mask:0xf
	s_lshl_b64 s[4:5], s[4:5], 1
	v_cvt_f32_f16_e32 v9, v9
	v_cvt_f32_f16_e32 v10, v10
	;; [unrolled: 1-line block ×3, first 2 shown]
	v_add_f32_e32 v70, v70, v71
	v_cvt_f32_f16_e32 v12, v12
	s_add_u32 s4, s14, s4
	s_addc_u32 s5, s1, s5
	v_lshrrev_b32_e32 v84, 16, v3
	v_mov_b32_dpp v71, v70 quad_perm:[2,3,0,1] row_mask:0xf bank_mask:0xf
	s_and_b32 s5, s5, 0xffff
	v_cvt_f32_f16_e32 v3, v3
	s_delay_alu instid0(VALU_DEP_3) | instskip(NEXT) | instid1(VALU_DEP_3)
	v_cvt_f32_f16_e32 v84, v84
	v_add_f32_e32 v70, v70, v71
	s_delay_alu instid0(VALU_DEP_1) | instskip(NEXT) | instid1(VALU_DEP_1)
	v_mov_b32_dpp v71, v70 row_xmask:7 row_mask:0xf bank_mask:0xf
	v_add_f32_e32 v70, v70, v71
	s_delay_alu instid0(VALU_DEP_1) | instskip(SKIP_1) | instid1(VALU_DEP_2)
	v_div_scale_f32 v71, null, v36, v36, v70
	v_div_scale_f32 v75, vcc_lo, v70, v36, v70
	v_rcp_f32_e32 v72, v71
	s_waitcnt_depctr 0xfff
	v_fma_f32 v73, -v71, v72, 1.0
	s_delay_alu instid0(VALU_DEP_1) | instskip(SKIP_2) | instid1(VALU_DEP_3)
	v_fmac_f32_e32 v72, v73, v72
	v_lshrrev_b32_e32 v73, 16, v15
	v_cvt_f32_f16_e32 v15, v15
	v_mul_f32_e32 v77, v75, v72
	s_delay_alu instid0(VALU_DEP_3) | instskip(NEXT) | instid1(VALU_DEP_2)
	v_cvt_f32_f16_e32 v73, v73
	v_fma_f32 v80, -v71, v77, v75
	s_delay_alu instid0(VALU_DEP_1) | instskip(SKIP_2) | instid1(VALU_DEP_3)
	v_fmac_f32_e32 v77, v80, v72
	v_lshrrev_b32_e32 v80, 16, v5
	v_cvt_f32_f16_e32 v5, v5
	v_fma_f32 v71, -v71, v77, v75
	v_lshrrev_b32_e32 v75, 16, v7
	v_cvt_f32_f16_e32 v7, v7
	v_cvt_f32_f16_e32 v80, v80
	s_delay_alu instid0(VALU_DEP_4)
	v_div_fmas_f32 v71, v71, v72, v77
	v_lshrrev_b32_e32 v72, 16, v8
	v_cvt_f32_f16_e32 v8, v8
	v_lshrrev_b32_e32 v77, 16, v1
	v_cvt_f32_f16_e32 v1, v1
	v_div_fixup_f32 v70, v71, v36, v70
	v_cvt_f32_f16_e32 v72, v72
	v_lshrrev_b32_e32 v71, 16, v2
	v_cvt_f32_f16_e32 v2, v2
	v_cvt_f32_f16_e32 v75, v75
	v_add_f32_e32 v70, v33, v70
	v_cvt_f32_f16_e32 v77, v77
	v_cvt_f32_f16_e32 v71, v71
	s_delay_alu instid0(VALU_DEP_3) | instskip(SKIP_1) | instid1(VALU_DEP_2)
	v_mul_f32_e32 v4, 0x4b800000, v70
	v_cmp_gt_f32_e32 vcc_lo, 0x800000, v70
	v_cndmask_b32_e32 v70, v70, v4, vcc_lo
	v_mov_b32_e32 v4, v32
	v_cvt_f32_f16_e32 v32, v74
	v_cvt_f32_f16_e32 v74, v76
	;; [unrolled: 1-line block ×3, first 2 shown]
	v_rsq_f32_e32 v70, v70
	v_cvt_f32_f16_e32 v78, v79
	v_cvt_f32_f16_e32 v79, v81
	;; [unrolled: 1-line block ×4, first 2 shown]
	s_waitcnt_depctr 0xfff
	v_mul_f32_e32 v83, 0x45800000, v70
	s_delay_alu instid0(VALU_DEP_1) | instskip(SKIP_1) | instid1(VALU_DEP_2)
	v_cndmask_b32_e32 v70, v70, v83, vcc_lo
	v_cvt_f32_f16_e32 v83, v85
	v_mul_f32_e32 v13, v70, v13
	v_mul_f32_e32 v14, v70, v14
	;; [unrolled: 1-line block ×13, first 2 shown]
	v_fma_mixlo_f16 v5, v13, v37, 0
	v_fma_mixlo_f16 v6, v14, v38, 0
	;; [unrolled: 1-line block ×3, first 2 shown]
	v_mov_b32_e32 v15, v19
	v_mov_b32_e32 v13, v17
	v_fma_mixlo_f16 v8, v16, v40, 0
	v_fma_mixhi_f16 v6, v32, v54, 0
	v_fma_mixhi_f16 v7, v87, v55, 0
	;; [unrolled: 1-line block ×3, first 2 shown]
	v_fma_mixlo_f16 v69, v69, v45, 0
	v_fma_mixhi_f16 v8, v88, v56, 0
	v_fma_mixlo_f16 v72, v72, v48, 0
	v_mov_b32_e32 v16, v20
	v_mov_b32_e32 v14, v18
	buffer_store_b128 v[5:8], v34, s[4:7], 0 offen
	v_mov_b32_e32 v5, v25
	v_mul_f32_e32 v9, v70, v9
	v_mul_f32_e32 v10, v70, v10
	;; [unrolled: 1-line block ×12, first 2 shown]
	v_fma_mixlo_f16 v9, v9, v41, 0
	v_fma_mixlo_f16 v10, v10, v42, 0
	;; [unrolled: 1-line block ×4, first 2 shown]
	v_mul_f32_e32 v80, v70, v80
	v_mul_f32_e32 v82, v70, v82
	;; [unrolled: 1-line block ×7, first 2 shown]
	v_fma_mixlo_f16 v70, v73, v46, 0
	v_fma_mixlo_f16 v71, v74, v47, 0
	;; [unrolled: 1-line block ×6, first 2 shown]
	v_fma_mixhi_f16 v12, v81, v60, 0
	v_fma_mixhi_f16 v11, v79, v59, 0
	;; [unrolled: 1-line block ×12, first 2 shown]
	;;#ASMSTART
	s_nop 0
	;;#ASMEND
	buffer_store_b128 v[9:12], v34, s[4:7], s16 offen
	v_dual_mov_b32 v3, v31 :: v_dual_mov_b32 v2, v30
	v_dual_mov_b32 v1, v29 :: v_dual_mov_b32 v8, v28
	;; [unrolled: 1-line block ×5, first 2 shown]
	;;#ASMSTART
	s_nop 0
	;;#ASMEND
	buffer_store_b128 v[69:72], v34, s[4:7], s17 offen
	;;#ASMSTART
	s_nop 0
	;;#ASMEND
	buffer_store_b128 v[73:76], v34, s[4:7], s18 offen
	;;#ASMSTART
	s_nop 0
	;;#ASMEND
.LBB21_3:                               ;   in Loop: Header=BB21_4 Depth=1
	s_delay_alu instid0(VALU_DEP_1)
	s_and_b32 s22, s23, s22
	s_mov_b64 s[4:5], 1
	s_and_b32 vcc_lo, exec_lo, s22
	s_mov_b32 s22, 0
	s_cbranch_vccz .LBB21_9
.LBB21_4:                               ; =>This Inner Loop Header: Depth=1
	s_or_b64 s[4:5], s[2:3], s[4:5]
	s_delay_alu instid0(SALU_CYCLE_1) | instskip(SKIP_1) | instid1(VALU_DEP_2)
	v_cmp_ge_i64_e64 s24, s[4:5], s[12:13]
	v_cmp_lt_i64_e64 s23, s[4:5], s[12:13]
	s_and_b32 vcc_lo, exec_lo, s24
	s_cbranch_vccnz .LBB21_3
; %bb.5:                                ;   in Loop: Header=BB21_4 Depth=1
	s_waitcnt vmcnt(3)
	v_dual_mov_b32 v17, v13 :: v_dual_mov_b32 v18, v14
	v_dual_mov_b32 v19, v15 :: v_dual_mov_b32 v20, v16
	s_waitcnt vmcnt(2)
	v_dual_mov_b32 v21, v9 :: v_dual_mov_b32 v22, v10
	v_dual_mov_b32 v23, v11 :: v_dual_mov_b32 v24, v12
	;; [unrolled: 3-line block ×4, first 2 shown]
	s_and_b32 s24, s22, s19
	s_delay_alu instid0(SALU_CYCLE_1)
	s_and_not1_b32 vcc_lo, exec_lo, s24
	s_cbranch_vccnz .LBB21_7
; %bb.6:                                ;   in Loop: Header=BB21_4 Depth=1
	s_clause 0x3
	buffer_load_b128 v[17:20], v34, s[8:11], 0 offen glc slc
	buffer_load_b128 v[21:24], v34, s[8:11], s16 offen glc slc
	;; [unrolled: 1-line block ×4, first 2 shown]
.LBB21_7:                               ;   in Loop: Header=BB21_4 Depth=1
	v_lshrrev_b32_e32 v69, 16, v13
	s_delay_alu instid0(VALU_DEP_1) | instskip(NEXT) | instid1(VALU_DEP_1)
	v_cvt_f32_f16_e32 v69, v69
	v_mul_f32_e32 v70, v69, v69
	s_delay_alu instid0(VALU_DEP_1) | instskip(NEXT) | instid1(VALU_DEP_1)
	v_fma_mix_f32 v70, v13, v13, v70 op_sel_hi:[1,1,0]
	v_fma_mix_f32 v70, v14, v14, v70 op_sel_hi:[1,1,0]
	s_delay_alu instid0(VALU_DEP_1) | instskip(NEXT) | instid1(VALU_DEP_1)
	v_fma_mix_f32 v70, v14, v14, v70 op_sel:[1,1,0] op_sel_hi:[1,1,0]
	v_fma_mix_f32 v70, v15, v15, v70 op_sel_hi:[1,1,0]
	s_delay_alu instid0(VALU_DEP_1) | instskip(NEXT) | instid1(VALU_DEP_1)
	v_fma_mix_f32 v70, v15, v15, v70 op_sel:[1,1,0] op_sel_hi:[1,1,0]
	;; [unrolled: 3-line block ×15, first 2 shown]
	v_mov_b32_dpp v71, v70 quad_perm:[1,0,3,2] row_mask:0xf bank_mask:0xf
	s_delay_alu instid0(VALU_DEP_1) | instskip(NEXT) | instid1(VALU_DEP_1)
	v_add_f32_e32 v70, v70, v71
	v_mov_b32_dpp v71, v70 quad_perm:[2,3,0,1] row_mask:0xf bank_mask:0xf
	s_delay_alu instid0(VALU_DEP_1) | instskip(NEXT) | instid1(VALU_DEP_1)
	v_add_f32_e32 v70, v70, v71
	v_mov_b32_dpp v71, v70 row_xmask:7 row_mask:0xf bank_mask:0xf
	s_delay_alu instid0(VALU_DEP_1) | instskip(NEXT) | instid1(VALU_DEP_1)
	v_add_f32_e32 v70, v70, v71
	v_mov_b32_dpp v71, v70 row_xmask:15 row_mask:0xf bank_mask:0xf
	s_and_saveexec_b32 s24, s0
	s_cbranch_execz .LBB21_2
; %bb.8:                                ;   in Loop: Header=BB21_4 Depth=1
	s_delay_alu instid0(VALU_DEP_1) | instskip(NEXT) | instid1(VALU_DEP_1)
	v_add_f32_e32 v70, v70, v71
	v_permlanex16_b32 v71, v70, s21, 0xfedcba98 op_sel:[1,1]
	s_delay_alu instid0(VALU_DEP_1)
	v_add_f32_e32 v70, v70, v71
	ds_store_b32 v0, v70
	s_branch .LBB21_2
.LBB21_9:
	s_nop 0
	s_sendmsg sendmsg(MSG_DEALLOC_VGPRS)
	s_endpgm
	.section	.rodata,"a",@progbits
	.p2align	6, 0x0
	.amdhsa_kernel _ZN5aiter23fused_qk_rmsnorm_kernelIDF16_Li256ELi32ELb1ELi2EEEvPT_S2_PKS1_S4_S4_S4_ffiiiiiii
		.amdhsa_group_segment_fixed_size 32
		.amdhsa_private_segment_fixed_size 0
		.amdhsa_kernarg_size 84
		.amdhsa_user_sgpr_count 14
		.amdhsa_user_sgpr_dispatch_ptr 0
		.amdhsa_user_sgpr_queue_ptr 0
		.amdhsa_user_sgpr_kernarg_segment_ptr 1
		.amdhsa_user_sgpr_dispatch_id 0
		.amdhsa_user_sgpr_private_segment_size 0
		.amdhsa_wavefront_size32 1
		.amdhsa_uses_dynamic_stack 0
		.amdhsa_enable_private_segment 0
		.amdhsa_system_sgpr_workgroup_id_x 1
		.amdhsa_system_sgpr_workgroup_id_y 1
		.amdhsa_system_sgpr_workgroup_id_z 0
		.amdhsa_system_sgpr_workgroup_info 0
		.amdhsa_system_vgpr_workitem_id 0
		.amdhsa_next_free_vgpr 93
		.amdhsa_next_free_sgpr 31
		.amdhsa_reserve_vcc 1
		.amdhsa_float_round_mode_32 0
		.amdhsa_float_round_mode_16_64 0
		.amdhsa_float_denorm_mode_32 3
		.amdhsa_float_denorm_mode_16_64 3
		.amdhsa_dx10_clamp 1
		.amdhsa_ieee_mode 1
		.amdhsa_fp16_overflow 0
		.amdhsa_workgroup_processor_mode 1
		.amdhsa_memory_ordered 1
		.amdhsa_forward_progress 0
		.amdhsa_shared_vgpr_count 0
		.amdhsa_exception_fp_ieee_invalid_op 0
		.amdhsa_exception_fp_denorm_src 0
		.amdhsa_exception_fp_ieee_div_zero 0
		.amdhsa_exception_fp_ieee_overflow 0
		.amdhsa_exception_fp_ieee_underflow 0
		.amdhsa_exception_fp_ieee_inexact 0
		.amdhsa_exception_int_div_zero 0
	.end_amdhsa_kernel
	.section	.text._ZN5aiter23fused_qk_rmsnorm_kernelIDF16_Li256ELi32ELb1ELi2EEEvPT_S2_PKS1_S4_S4_S4_ffiiiiiii,"axG",@progbits,_ZN5aiter23fused_qk_rmsnorm_kernelIDF16_Li256ELi32ELb1ELi2EEEvPT_S2_PKS1_S4_S4_S4_ffiiiiiii,comdat
.Lfunc_end21:
	.size	_ZN5aiter23fused_qk_rmsnorm_kernelIDF16_Li256ELi32ELb1ELi2EEEvPT_S2_PKS1_S4_S4_S4_ffiiiiiii, .Lfunc_end21-_ZN5aiter23fused_qk_rmsnorm_kernelIDF16_Li256ELi32ELb1ELi2EEEvPT_S2_PKS1_S4_S4_S4_ffiiiiiii
                                        ; -- End function
	.section	.AMDGPU.csdata,"",@progbits
; Kernel info:
; codeLenInByte = 2304
; NumSgprs: 33
; NumVgprs: 93
; ScratchSize: 0
; MemoryBound: 0
; FloatMode: 240
; IeeeMode: 1
; LDSByteSize: 32 bytes/workgroup (compile time only)
; SGPRBlocks: 4
; VGPRBlocks: 11
; NumSGPRsForWavesPerEU: 33
; NumVGPRsForWavesPerEU: 93
; Occupancy: 16
; WaveLimiterHint : 0
; COMPUTE_PGM_RSRC2:SCRATCH_EN: 0
; COMPUTE_PGM_RSRC2:USER_SGPR: 14
; COMPUTE_PGM_RSRC2:TRAP_HANDLER: 0
; COMPUTE_PGM_RSRC2:TGID_X_EN: 1
; COMPUTE_PGM_RSRC2:TGID_Y_EN: 1
; COMPUTE_PGM_RSRC2:TGID_Z_EN: 0
; COMPUTE_PGM_RSRC2:TIDIG_COMP_CNT: 0
	.section	.text._ZN5aiter23fused_qk_rmsnorm_kernelItLi256ELi32ELb1ELi2EEEvPT_S2_PKS1_S4_S4_S4_ffiiiiiii,"axG",@progbits,_ZN5aiter23fused_qk_rmsnorm_kernelItLi256ELi32ELb1ELi2EEEvPT_S2_PKS1_S4_S4_S4_ffiiiiiii,comdat
	.protected	_ZN5aiter23fused_qk_rmsnorm_kernelItLi256ELi32ELb1ELi2EEEvPT_S2_PKS1_S4_S4_S4_ffiiiiiii ; -- Begin function _ZN5aiter23fused_qk_rmsnorm_kernelItLi256ELi32ELb1ELi2EEEvPT_S2_PKS1_S4_S4_S4_ffiiiiiii
	.globl	_ZN5aiter23fused_qk_rmsnorm_kernelItLi256ELi32ELb1ELi2EEEvPT_S2_PKS1_S4_S4_S4_ffiiiiiii
	.p2align	8
	.type	_ZN5aiter23fused_qk_rmsnorm_kernelItLi256ELi32ELb1ELi2EEEvPT_S2_PKS1_S4_S4_S4_ffiiiiiii,@function
_ZN5aiter23fused_qk_rmsnorm_kernelItLi256ELi32ELb1ELi2EEEvPT_S2_PKS1_S4_S4_S4_ffiiiiiii: ; @_ZN5aiter23fused_qk_rmsnorm_kernelItLi256ELi32ELb1ELi2EEEvPT_S2_PKS1_S4_S4_S4_ffiiiiiii
; %bb.0:
	s_load_b256 s[4:11], s[0:1], 0x30
	s_mov_b32 s2, s14
	s_mov_b32 s3, 0
	s_delay_alu instid0(SALU_CYCLE_1) | instskip(SKIP_3) | instid1(SALU_CYCLE_1)
	s_lshl_b64 s[2:3], s[2:3], 1
	s_waitcnt lgkmcnt(0)
	s_ashr_i32 s13, s6, 31
	s_mov_b32 s12, s6
	v_cmp_ge_i64_e64 s6, s[2:3], s[12:13]
	s_delay_alu instid0(VALU_DEP_1)
	s_and_b32 vcc_lo, exec_lo, s6
	s_cbranch_vccnz .LBB22_9
; %bb.1:
	s_clause 0x2
	s_load_b256 s[16:23], s[0:1], 0x0
	s_load_b128 s[24:27], s[0:1], 0x20
	s_load_b32 s0, s[0:1], 0x50
	s_cmp_eq_u32 s15, 0
	v_dual_mov_b32 v1, s4 :: v_dual_lshlrev_b32 v2, 6, v0
	s_cselect_b32 vcc_lo, -1, 0
	v_and_b32_e32 v35, 31, v0
	s_and_b32 s1, vcc_lo, exec_lo
	s_cselect_b32 s28, s9, s10
	v_cndmask_b32_e32 v33, s5, v1, vcc_lo
	s_cselect_b32 s30, s7, s8
	s_mul_i32 s7, s3, s28
	v_lshlrev_b32_e32 v1, 4, v0
	v_and_b32_e32 v2, 0xf800, v2
	v_and_b32_e32 v37, 7, v0
	v_lshrrev_b32_e32 v36, 3, v0
	s_delay_alu instid0(VALU_DEP_3)
	v_and_or_b32 v34, 0x1f0, v1, v2
	s_waitcnt lgkmcnt(0)
	s_cselect_b32 s5, s21, s23
	s_cselect_b32 s8, s20, s22
	;; [unrolled: 1-line block ×7, first 2 shown]
	s_ashr_i32 s29, s28, 31
	s_mul_hi_u32 s0, s2, s28
	s_mul_i32 s6, s2, s29
	s_movk_i32 s16, 0x200
	s_add_i32 s0, s0, s6
	s_mul_i32 s6, s2, s28
	s_add_i32 s7, s0, s7
	s_movk_i32 s17, 0x400
	s_lshl_b64 s[6:7], s[6:7], 1
	s_movk_i32 s18, 0x600
	s_add_u32 s8, s8, s6
	s_addc_u32 s20, s5, s7
	s_add_i32 s0, s30, 1
	s_mov_b32 s7, -1
	s_lshr_b32 s5, s0, 31
	s_mov_b32 s11, s7
	s_add_i32 s0, s0, s5
	s_and_b32 s5, s9, 0xffff
	s_lshl_b32 s0, s0, 1
	s_and_b32 s9, s20, 0xffff
	s_and_b32 s6, s0, -4
	v_cmp_eq_u32_e64 s0, 31, v35
	s_clause 0x3
	buffer_load_b128 v[17:20], v34, s[4:7], 0 offen
	buffer_load_b128 v[21:24], v34, s[4:7], s16 offen
	;; [unrolled: 1-line block ×4, first 2 shown]
	s_mov_b32 s10, s6
	s_clause 0x3
	buffer_load_b128 v[13:16], v34, s[8:11], 0 offen glc slc
	buffer_load_b128 v[9:12], v34, s[8:11], s16 offen glc slc
	;; [unrolled: 1-line block ×4, first 2 shown]
	v_lshlrev_b32_e32 v35, 2, v37
	s_mov_b32 s5, s3
	s_or_b32 s4, s2, 1
	s_lshl_b64 s[10:11], s[28:29], 1
	v_cmp_lt_u64_e64 s19, s[4:5], s[12:13]
	v_and_b32_e32 v0, 0x7c, v36
	v_cvt_f32_i32_e32 v36, s30
	s_add_u32 s8, s8, s10
	s_addc_u32 s4, s20, s11
	s_mov_b64 s[10:11], s[6:7]
	s_ashr_i32 s20, s15, 31
	s_and_b32 s9, s4, 0xffff
	s_mov_b64 s[4:5], 0
	s_mov_b32 s21, 0x76543210
	s_mov_b32 s22, s7
	s_waitcnt vmcnt(7)
	v_lshrrev_b32_e32 v37, 16, v17
	v_and_b32_e32 v17, 0xffff, v17
	v_lshrrev_b32_e32 v39, 16, v18
	v_and_b32_e32 v18, 0xffff, v18
	v_lshrrev_b32_e32 v41, 16, v19
	v_and_b32_e32 v19, 0xffff, v19
	v_lshrrev_b32_e32 v43, 16, v20
	v_and_b32_e32 v20, 0xffff, v20
	s_waitcnt vmcnt(6)
	v_lshrrev_b32_e32 v45, 16, v21
	v_and_b32_e32 v21, 0xffff, v21
	v_lshrrev_b32_e32 v47, 16, v22
	v_and_b32_e32 v22, 0xffff, v22
	v_lshrrev_b32_e32 v49, 16, v23
	v_and_b32_e32 v23, 0xffff, v23
	v_lshrrev_b32_e32 v51, 16, v24
	v_and_b32_e32 v24, 0xffff, v24
	;; [unrolled: 9-line block ×4, first 2 shown]
	v_cvt_f32_u32_e32 v37, v37
	v_cvt_f32_u32_e32 v38, v17
	;; [unrolled: 1-line block ×32, first 2 shown]
	s_branch .LBB22_4
.LBB22_2:                               ;   in Loop: Header=BB22_4 Depth=1
	s_or_b32 exec_lo, exec_lo, s24
	s_waitcnt vmcnt(0) lgkmcnt(0)
	s_waitcnt_vscnt null, 0x0
	s_barrier
	buffer_gl0_inv
	ds_load_b32 v1, v35
	v_dual_mov_b32 v9, v21 :: v_dual_mov_b32 v14, v18
	v_dual_mov_b32 v7, v27 :: v_dual_mov_b32 v10, v22
	s_mul_i32 s24, s4, s20
	s_mul_hi_u32 s25, s4, s15
	s_mul_i32 s5, s5, s15
	s_add_i32 s24, s25, s24
	s_mul_i32 s4, s4, s15
	s_add_i32 s5, s24, s5
	v_mov_b32_e32 v8, v28
	s_lshl_b64 s[4:5], s[4:5], 1
	v_mov_b32_e32 v12, v24
	s_add_u32 s4, s14, s4
	s_addc_u32 s5, s1, s5
	v_mov_b32_e32 v16, v20
	s_and_b32 s5, s5, 0xffff
	s_waitcnt lgkmcnt(0)
	v_mov_b32_dpp v2, v1 quad_perm:[1,0,3,2] row_mask:0xf bank_mask:0xf
	s_delay_alu instid0(VALU_DEP_1) | instskip(NEXT) | instid1(VALU_DEP_1)
	v_add_f32_e32 v1, v1, v2
	v_mov_b32_dpp v2, v1 quad_perm:[2,3,0,1] row_mask:0xf bank_mask:0xf
	s_delay_alu instid0(VALU_DEP_1) | instskip(NEXT) | instid1(VALU_DEP_1)
	v_add_f32_e32 v1, v1, v2
	v_mov_b32_dpp v2, v1 row_xmask:7 row_mask:0xf bank_mask:0xf
	s_delay_alu instid0(VALU_DEP_1) | instskip(NEXT) | instid1(VALU_DEP_1)
	v_add_f32_e32 v1, v1, v2
	v_div_scale_f32 v2, null, v36, v36, v1
	v_div_scale_f32 v5, vcc_lo, v1, v36, v1
	s_delay_alu instid0(VALU_DEP_2) | instskip(SKIP_2) | instid1(VALU_DEP_1)
	v_rcp_f32_e32 v3, v2
	s_waitcnt_depctr 0xfff
	v_fma_f32 v4, -v2, v3, 1.0
	v_fmac_f32_e32 v3, v4, v3
	s_delay_alu instid0(VALU_DEP_1) | instskip(NEXT) | instid1(VALU_DEP_1)
	v_mul_f32_e32 v4, v5, v3
	v_fma_f32 v6, -v2, v4, v5
	s_delay_alu instid0(VALU_DEP_1) | instskip(SKIP_1) | instid1(VALU_DEP_2)
	v_fmac_f32_e32 v4, v6, v3
	v_mov_b32_e32 v6, v26
	v_fma_f32 v2, -v2, v4, v5
	s_delay_alu instid0(VALU_DEP_1) | instskip(SKIP_1) | instid1(VALU_DEP_2)
	v_div_fmas_f32 v2, v2, v3, v4
	v_dual_mov_b32 v3, v31 :: v_dual_mov_b32 v4, v32
	v_div_fixup_f32 v1, v2, v36, v1
	s_delay_alu instid0(VALU_DEP_1) | instskip(NEXT) | instid1(VALU_DEP_1)
	v_add_f32_e32 v1, v33, v1
	v_mul_f32_e32 v2, 0x4b800000, v1
	v_cmp_gt_f32_e32 vcc_lo, 0x800000, v1
	s_delay_alu instid0(VALU_DEP_2) | instskip(SKIP_1) | instid1(VALU_DEP_2)
	v_cndmask_b32_e32 v5, v1, v2, vcc_lo
	v_dual_mov_b32 v1, v29 :: v_dual_mov_b32 v2, v30
	v_rsq_f32_e32 v13, v5
	v_mov_b32_e32 v5, v25
	s_waitcnt_depctr 0xfff
	v_dual_mov_b32 v11, v23 :: v_dual_mul_f32 v20, 0x45800000, v13
	s_delay_alu instid0(VALU_DEP_1) | instskip(NEXT) | instid1(VALU_DEP_1)
	v_dual_mov_b32 v15, v19 :: v_dual_cndmask_b32 v18, v13, v20
	v_dual_mov_b32 v13, v17 :: v_dual_mul_f32 v20, v18, v75
	v_mul_f32_e32 v32, v18, v76
	v_mul_f32_e32 v23, v18, v71
	;; [unrolled: 1-line block ×4, first 2 shown]
	v_dual_mul_f32 v28, v18, v83 :: v_dual_mul_f32 v85, v20, v41
	v_mul_f32_e32 v32, v32, v45
	v_dual_mul_f32 v24, v18, v69 :: v_dual_mul_f32 v23, v23, v40
	v_mul_f32_e32 v17, v18, v79
	v_mul_f32_e32 v27, v27, v52
	;; [unrolled: 1-line block ×3, first 2 shown]
	s_delay_alu instid0(VALU_DEP_4) | instskip(NEXT) | instid1(VALU_DEP_4)
	v_mul_f32_e32 v24, v24, v37
	v_dual_mul_f32 v30, v18, v80 :: v_dual_mul_f32 v17, v17, v43
	v_mul_f32_e32 v80, v18, v98
	v_mul_f32_e32 v77, v18, v82
	v_dual_mul_f32 v25, v18, v70 :: v_dual_mul_f32 v28, v28, v49
	v_mul_f32_e32 v22, v18, v72
	s_delay_alu instid0(VALU_DEP_4) | instskip(NEXT) | instid1(VALU_DEP_4)
	v_mul_f32_e32 v80, v80, v65
	v_dual_mul_f32 v76, v18, v84 :: v_dual_mul_f32 v77, v77, v54
	v_mul_f32_e32 v31, v18, v78
	v_mul_f32_e32 v84, v18, v92
	v_dual_mul_f32 v26, v18, v87 :: v_dual_mul_f32 v21, v21, v42
	v_mul_f32_e32 v29, v18, v81
	v_dual_mul_f32 v70, v18, v95 :: v_dual_mul_f32 v19, v19, v44
	v_mul_f32_e32 v71, v18, v93
	v_mul_f32_e32 v73, v18, v89
	v_dual_mul_f32 v75, v18, v86 :: v_dual_mul_f32 v84, v84, v61
	v_mul_f32_e32 v78, v18, v100
	v_mul_f32_e32 v79, v18, v99
	s_delay_alu instid0(VALU_DEP_4)
	v_mul_f32_e32 v73, v73, v58
	v_mul_f32_e32 v81, v18, v97
	;; [unrolled: 1-line block ×3, first 2 shown]
	v_dual_mul_f32 v83, v18, v94 :: v_dual_mul_f32 v76, v76, v53
	v_dual_mul_f32 v72, v18, v91 :: v_dual_mul_f32 v31, v31, v48
	v_mul_f32_e32 v69, v18, v74
	v_dual_mul_f32 v74, v18, v88 :: v_dual_mul_f32 v29, v29, v50
	v_dual_mul_f32 v18, v18, v90 :: v_dual_mul_f32 v75, v75, v56
	;; [unrolled: 1-line block ×7, first 2 shown]
	v_mul_f32_e32 v70, v70, v59
	v_mul_f32_e32 v86, v18, v62
	v_dual_mul_f32 v81, v81, v66 :: v_dual_mul_f32 v82, v82, v63
	v_mul_f32_e32 v78, v78, v67
	v_perm_b32 v20, v17, v19, 0x7060302
	v_perm_b32 v19, v85, v21, 0x7060302
	;; [unrolled: 1-line block ×16, first 2 shown]
	buffer_store_b128 v[17:20], v34, s[4:7], 0 offen
	;;#ASMSTART
	s_nop 0
	;;#ASMEND
	buffer_store_b128 v[21:24], v34, s[4:7], s16 offen
	;;#ASMSTART
	s_nop 0
	;;#ASMEND
	;; [unrolled: 4-line block ×4, first 2 shown]
.LBB22_3:                               ;   in Loop: Header=BB22_4 Depth=1
	s_delay_alu instid0(VALU_DEP_1)
	s_and_b32 s22, s23, s22
	s_mov_b64 s[4:5], 1
	s_and_b32 vcc_lo, exec_lo, s22
	s_mov_b32 s22, 0
	s_cbranch_vccz .LBB22_9
.LBB22_4:                               ; =>This Inner Loop Header: Depth=1
	s_or_b64 s[4:5], s[2:3], s[4:5]
	s_delay_alu instid0(SALU_CYCLE_1) | instskip(SKIP_1) | instid1(VALU_DEP_2)
	v_cmp_ge_i64_e64 s24, s[4:5], s[12:13]
	v_cmp_lt_i64_e64 s23, s[4:5], s[12:13]
	s_and_b32 vcc_lo, exec_lo, s24
	s_cbranch_vccnz .LBB22_3
; %bb.5:                                ;   in Loop: Header=BB22_4 Depth=1
	s_waitcnt vmcnt(3)
	v_dual_mov_b32 v17, v13 :: v_dual_mov_b32 v18, v14
	v_dual_mov_b32 v19, v15 :: v_dual_mov_b32 v20, v16
	s_waitcnt vmcnt(2)
	v_dual_mov_b32 v21, v9 :: v_dual_mov_b32 v22, v10
	v_dual_mov_b32 v23, v11 :: v_dual_mov_b32 v24, v12
	;; [unrolled: 3-line block ×4, first 2 shown]
	s_and_b32 s24, s22, s19
	s_delay_alu instid0(SALU_CYCLE_1)
	s_and_not1_b32 vcc_lo, exec_lo, s24
	s_cbranch_vccnz .LBB22_7
; %bb.6:                                ;   in Loop: Header=BB22_4 Depth=1
	s_clause 0x3
	buffer_load_b128 v[17:20], v34, s[8:11], 0 offen glc slc
	buffer_load_b128 v[21:24], v34, s[8:11], s16 offen glc slc
	;; [unrolled: 1-line block ×4, first 2 shown]
.LBB22_7:                               ;   in Loop: Header=BB22_4 Depth=1
	v_and_b32_e32 v69, 0xffff0000, v13
	v_lshlrev_b32_e32 v71, 16, v14
	v_lshlrev_b32_e32 v70, 16, v13
	v_lshlrev_b32_e32 v73, 16, v15
	v_and_b32_e32 v75, 0xffff0000, v15
	v_dual_mul_f32 v13, v69, v69 :: v_dual_and_b32 v72, 0xffff0000, v14
	v_lshlrev_b32_e32 v77, 16, v16
	v_and_b32_e32 v79, 0xffff0000, v16
	v_lshlrev_b32_e32 v81, 16, v11
	s_delay_alu instid0(VALU_DEP_4) | instskip(SKIP_3) | instid1(VALU_DEP_4)
	v_dual_fmac_f32 v13, v70, v70 :: v_dual_lshlrev_b32 v74, 16, v9
	v_and_b32_e32 v83, 0xffff0000, v11
	v_lshlrev_b32_e32 v85, 16, v12
	v_and_b32_e32 v87, 0xffff0000, v12
	v_fmac_f32_e32 v13, v71, v71
	v_lshlrev_b32_e32 v89, 16, v7
	v_and_b32_e32 v91, 0xffff0000, v7
	v_lshlrev_b32_e32 v93, 16, v8
	v_and_b32_e32 v95, 0xffff0000, v8
	v_dual_fmac_f32 v13, v72, v72 :: v_dual_and_b32 v76, 0xffff0000, v9
	v_lshlrev_b32_e32 v97, 16, v3
	v_lshlrev_b32_e32 v99, 16, v4
	s_delay_alu instid0(VALU_DEP_3) | instskip(SKIP_3) | instid1(VALU_DEP_4)
	v_dual_fmac_f32 v13, v73, v73 :: v_dual_lshlrev_b32 v78, 16, v10
	v_and_b32_e32 v80, 0xffff0000, v10
	v_lshlrev_b32_e32 v86, 16, v6
	v_lshlrev_b32_e32 v82, 16, v5
	v_dual_fmac_f32 v13, v75, v75 :: v_dual_and_b32 v84, 0xffff0000, v5
	v_and_b32_e32 v88, 0xffff0000, v6
	v_lshlrev_b32_e32 v90, 16, v1
	v_and_b32_e32 v92, 0xffff0000, v1
	s_delay_alu instid0(VALU_DEP_4) | instskip(SKIP_2) | instid1(VALU_DEP_3)
	v_dual_fmac_f32 v13, v77, v77 :: v_dual_lshlrev_b32 v94, 16, v2
	v_and_b32_e32 v96, 0xffff0000, v2
	v_and_b32_e32 v98, 0xffff0000, v3
	v_dual_fmac_f32 v13, v79, v79 :: v_dual_and_b32 v100, 0xffff0000, v4
	s_delay_alu instid0(VALU_DEP_1) | instskip(NEXT) | instid1(VALU_DEP_1)
	v_fmac_f32_e32 v13, v74, v74
	v_fmac_f32_e32 v13, v76, v76
	s_delay_alu instid0(VALU_DEP_1) | instskip(NEXT) | instid1(VALU_DEP_1)
	v_fmac_f32_e32 v13, v78, v78
	v_fmac_f32_e32 v13, v80, v80
	;; [unrolled: 3-line block ×12, first 2 shown]
	s_delay_alu instid0(VALU_DEP_1) | instskip(NEXT) | instid1(VALU_DEP_1)
	v_mov_b32_dpp v1, v13 quad_perm:[1,0,3,2] row_mask:0xf bank_mask:0xf
	v_add_f32_e32 v1, v13, v1
	s_delay_alu instid0(VALU_DEP_1) | instskip(NEXT) | instid1(VALU_DEP_1)
	v_mov_b32_dpp v2, v1 quad_perm:[2,3,0,1] row_mask:0xf bank_mask:0xf
	v_add_f32_e32 v1, v1, v2
	s_delay_alu instid0(VALU_DEP_1) | instskip(NEXT) | instid1(VALU_DEP_1)
	v_mov_b32_dpp v2, v1 row_xmask:7 row_mask:0xf bank_mask:0xf
	v_add_f32_e32 v1, v1, v2
	s_delay_alu instid0(VALU_DEP_1)
	v_mov_b32_dpp v2, v1 row_xmask:15 row_mask:0xf bank_mask:0xf
	s_and_saveexec_b32 s24, s0
	s_cbranch_execz .LBB22_2
; %bb.8:                                ;   in Loop: Header=BB22_4 Depth=1
	s_delay_alu instid0(VALU_DEP_1) | instskip(NEXT) | instid1(VALU_DEP_1)
	v_add_f32_e32 v1, v1, v2
	v_permlanex16_b32 v2, v1, s21, 0xfedcba98 op_sel:[1,1]
	s_delay_alu instid0(VALU_DEP_1)
	v_add_f32_e32 v1, v1, v2
	ds_store_b32 v0, v1
	s_branch .LBB22_2
.LBB22_9:
	s_nop 0
	s_sendmsg sendmsg(MSG_DEALLOC_VGPRS)
	s_endpgm
	.section	.rodata,"a",@progbits
	.p2align	6, 0x0
	.amdhsa_kernel _ZN5aiter23fused_qk_rmsnorm_kernelItLi256ELi32ELb1ELi2EEEvPT_S2_PKS1_S4_S4_S4_ffiiiiiii
		.amdhsa_group_segment_fixed_size 32
		.amdhsa_private_segment_fixed_size 0
		.amdhsa_kernarg_size 84
		.amdhsa_user_sgpr_count 14
		.amdhsa_user_sgpr_dispatch_ptr 0
		.amdhsa_user_sgpr_queue_ptr 0
		.amdhsa_user_sgpr_kernarg_segment_ptr 1
		.amdhsa_user_sgpr_dispatch_id 0
		.amdhsa_user_sgpr_private_segment_size 0
		.amdhsa_wavefront_size32 1
		.amdhsa_uses_dynamic_stack 0
		.amdhsa_enable_private_segment 0
		.amdhsa_system_sgpr_workgroup_id_x 1
		.amdhsa_system_sgpr_workgroup_id_y 1
		.amdhsa_system_sgpr_workgroup_id_z 0
		.amdhsa_system_sgpr_workgroup_info 0
		.amdhsa_system_vgpr_workitem_id 0
		.amdhsa_next_free_vgpr 101
		.amdhsa_next_free_sgpr 31
		.amdhsa_reserve_vcc 1
		.amdhsa_float_round_mode_32 0
		.amdhsa_float_round_mode_16_64 0
		.amdhsa_float_denorm_mode_32 3
		.amdhsa_float_denorm_mode_16_64 3
		.amdhsa_dx10_clamp 1
		.amdhsa_ieee_mode 1
		.amdhsa_fp16_overflow 0
		.amdhsa_workgroup_processor_mode 1
		.amdhsa_memory_ordered 1
		.amdhsa_forward_progress 0
		.amdhsa_shared_vgpr_count 0
		.amdhsa_exception_fp_ieee_invalid_op 0
		.amdhsa_exception_fp_denorm_src 0
		.amdhsa_exception_fp_ieee_div_zero 0
		.amdhsa_exception_fp_ieee_overflow 0
		.amdhsa_exception_fp_ieee_underflow 0
		.amdhsa_exception_fp_ieee_inexact 0
		.amdhsa_exception_int_div_zero 0
	.end_amdhsa_kernel
	.section	.text._ZN5aiter23fused_qk_rmsnorm_kernelItLi256ELi32ELb1ELi2EEEvPT_S2_PKS1_S4_S4_S4_ffiiiiiii,"axG",@progbits,_ZN5aiter23fused_qk_rmsnorm_kernelItLi256ELi32ELb1ELi2EEEvPT_S2_PKS1_S4_S4_S4_ffiiiiiii,comdat
.Lfunc_end22:
	.size	_ZN5aiter23fused_qk_rmsnorm_kernelItLi256ELi32ELb1ELi2EEEvPT_S2_PKS1_S4_S4_S4_ffiiiiiii, .Lfunc_end22-_ZN5aiter23fused_qk_rmsnorm_kernelItLi256ELi32ELb1ELi2EEEvPT_S2_PKS1_S4_S4_S4_ffiiiiiii
                                        ; -- End function
	.section	.AMDGPU.csdata,"",@progbits
; Kernel info:
; codeLenInByte = 2384
; NumSgprs: 33
; NumVgprs: 101
; ScratchSize: 0
; MemoryBound: 0
; FloatMode: 240
; IeeeMode: 1
; LDSByteSize: 32 bytes/workgroup (compile time only)
; SGPRBlocks: 4
; VGPRBlocks: 12
; NumSGPRsForWavesPerEU: 33
; NumVGPRsForWavesPerEU: 101
; Occupancy: 12
; WaveLimiterHint : 0
; COMPUTE_PGM_RSRC2:SCRATCH_EN: 0
; COMPUTE_PGM_RSRC2:USER_SGPR: 14
; COMPUTE_PGM_RSRC2:TRAP_HANDLER: 0
; COMPUTE_PGM_RSRC2:TGID_X_EN: 1
; COMPUTE_PGM_RSRC2:TGID_Y_EN: 1
; COMPUTE_PGM_RSRC2:TGID_Z_EN: 0
; COMPUTE_PGM_RSRC2:TIDIG_COMP_CNT: 0
	.section	.text._ZN5aiter23fused_qk_rmsnorm_kernelIDF16_Li256ELi32ELb1ELi1EEEvPT_S2_PKS1_S4_S4_S4_ffiiiiiii,"axG",@progbits,_ZN5aiter23fused_qk_rmsnorm_kernelIDF16_Li256ELi32ELb1ELi1EEEvPT_S2_PKS1_S4_S4_S4_ffiiiiiii,comdat
	.protected	_ZN5aiter23fused_qk_rmsnorm_kernelIDF16_Li256ELi32ELb1ELi1EEEvPT_S2_PKS1_S4_S4_S4_ffiiiiiii ; -- Begin function _ZN5aiter23fused_qk_rmsnorm_kernelIDF16_Li256ELi32ELb1ELi1EEEvPT_S2_PKS1_S4_S4_S4_ffiiiiiii
	.globl	_ZN5aiter23fused_qk_rmsnorm_kernelIDF16_Li256ELi32ELb1ELi1EEEvPT_S2_PKS1_S4_S4_S4_ffiiiiiii
	.p2align	8
	.type	_ZN5aiter23fused_qk_rmsnorm_kernelIDF16_Li256ELi32ELb1ELi1EEEvPT_S2_PKS1_S4_S4_S4_ffiiiiiii,@function
_ZN5aiter23fused_qk_rmsnorm_kernelIDF16_Li256ELi32ELb1ELi1EEEvPT_S2_PKS1_S4_S4_S4_ffiiiiiii: ; @_ZN5aiter23fused_qk_rmsnorm_kernelIDF16_Li256ELi32ELb1ELi1EEEvPT_S2_PKS1_S4_S4_S4_ffiiiiiii
; %bb.0:
	s_load_b256 s[4:11], s[0:1], 0x30
	s_mov_b32 s2, s15
	s_mov_b32 s15, 0
	s_waitcnt lgkmcnt(0)
	s_ashr_i32 s13, s6, 31
	s_mov_b32 s12, s6
	s_delay_alu instid0(SALU_CYCLE_1) | instskip(NEXT) | instid1(VALU_DEP_1)
	v_cmp_ge_i64_e64 s3, s[14:15], s[12:13]
	s_and_b32 vcc_lo, exec_lo, s3
	s_cbranch_vccnz .LBB23_4
; %bb.1:
	s_clause 0x1
	s_load_b256 s[16:23], s[0:1], 0x0
	s_load_b128 s[24:27], s[0:1], 0x20
	s_cmp_eq_u32 s2, 0
	s_load_b32 s6, s[0:1], 0x50
	s_cselect_b32 s2, -1, 0
	v_lshlrev_b32_e32 v1, 6, v0
	s_and_b32 s0, s2, exec_lo
	s_cselect_b32 s0, s9, s10
	s_cselect_b32 s7, s7, s8
	s_mul_hi_u32 s10, s0, s14
	v_lshlrev_b32_e32 v2, 4, v0
	v_and_b32_e32 v1, 0xf800, v1
	s_delay_alu instid0(VALU_DEP_1)
	v_and_or_b32 v17, 0x1f0, v2, v1
	s_waitcnt lgkmcnt(0)
	s_cselect_b32 s3, s21, s23
	s_cselect_b32 s8, s20, s22
	;; [unrolled: 1-line block ×4, first 2 shown]
	s_ashr_i32 s1, s0, 31
	s_mul_i32 s0, s0, s14
	s_mul_i32 s1, s1, s14
	s_mov_b32 s23, -1
	s_add_i32 s1, s10, s1
	s_mov_b32 s27, s23
	s_lshl_b64 s[0:1], s[0:1], 1
	s_delay_alu instid0(SALU_CYCLE_1)
	s_add_u32 s24, s8, s0
	s_addc_u32 s0, s3, s1
	s_add_i32 s1, s7, 1
	s_and_b32 s25, s0, 0xffff
	s_lshr_b32 s3, s1, 31
	s_movk_i32 s0, 0x600
	s_add_i32 s1, s1, s3
	s_movk_i32 s3, 0x400
	s_lshl_b32 s1, s1, 1
	s_and_b32 s21, s9, 0xffff
	s_and_b32 s22, s1, -4
	s_movk_i32 s1, 0x200
	s_mov_b32 s26, s22
	s_mov_b32 s8, exec_lo
	s_clause 0x3
	buffer_load_b128 v[19:22], v17, s[24:27], 0 offen glc slc
	buffer_load_b128 v[43:46], v17, s[24:27], s0 offen glc slc
	;; [unrolled: 1-line block ×4, first 2 shown]
	s_clause 0x3
	buffer_load_b128 v[13:16], v17, s[20:23], 0 offen
	buffer_load_b128 v[9:12], v17, s[20:23], s1 offen
	;; [unrolled: 1-line block ×4, first 2 shown]
	s_waitcnt vmcnt(7)
	v_lshrrev_b32_e32 v18, 16, v19
	v_cvt_f32_f16_e32 v42, v19
	v_cvt_f32_f16_e32 v41, v21
	v_lshrrev_b32_e32 v36, 16, v21
	v_cvt_f32_f16_e32 v38, v22
	v_cvt_f32_f16_e32 v18, v18
	v_lshrrev_b32_e32 v37, 16, v22
	s_waitcnt vmcnt(6)
	v_lshrrev_b32_e32 v54, 16, v43
	v_cvt_f32_f16_e32 v40, v20
	v_lshrrev_b32_e32 v35, 16, v20
	v_mul_f32_e32 v31, v18, v18
	v_lshrrev_b32_e32 v55, 16, v44
	s_waitcnt vmcnt(5)
	v_lshrrev_b32_e32 v50, 16, v24
	v_lshrrev_b32_e32 v56, 16, v45
	v_cvt_f32_f16_e32 v34, v23
	v_fma_mix_f32 v31, v19, v19, v31 op_sel_hi:[1,1,0]
	v_lshrrev_b32_e32 v39, 16, v23
	v_cvt_f32_f16_e32 v32, v24
	v_cvt_f32_f16_e32 v33, v25
	v_lshrrev_b32_e32 v51, 16, v25
	v_fma_mix_f32 v31, v20, v20, v31 op_sel_hi:[1,1,0]
	v_lshrrev_b32_e32 v53, 16, v26
	v_lshrrev_b32_e32 v57, 16, v46
	v_cvt_f32_f16_e32 v49, v35
	v_cvt_f32_f16_e32 v48, v36
	v_fma_mix_f32 v31, v20, v20, v31 op_sel:[1,1,0] op_sel_hi:[1,1,0]
	v_cvt_f32_f16_e32 v20, v44
	v_cvt_f32_f16_e32 v47, v37
	s_delay_alu instid0(VALU_DEP_3) | instskip(NEXT) | instid1(VALU_DEP_1)
	v_fma_mix_f32 v31, v21, v21, v31 op_sel_hi:[1,1,0]
	v_fma_mix_f32 v31, v21, v21, v31 op_sel:[1,1,0] op_sel_hi:[1,1,0]
	s_delay_alu instid0(VALU_DEP_1) | instskip(NEXT) | instid1(VALU_DEP_1)
	v_fma_mix_f32 v31, v22, v22, v31 op_sel_hi:[1,1,0]
	v_fma_mix_f32 v31, v22, v22, v31 op_sel:[1,1,0] op_sel_hi:[1,1,0]
	v_cvt_f32_f16_e32 v22, v43
	s_delay_alu instid0(VALU_DEP_2) | instskip(NEXT) | instid1(VALU_DEP_1)
	v_fma_mix_f32 v31, v23, v23, v31 op_sel_hi:[1,1,0]
	v_fma_mix_f32 v31, v23, v23, v31 op_sel:[1,1,0] op_sel_hi:[1,1,0]
	s_waitcnt vmcnt(4)
	v_cvt_f32_f16_e32 v23, v30
	s_delay_alu instid0(VALU_DEP_2) | instskip(NEXT) | instid1(VALU_DEP_1)
	v_fma_mix_f32 v31, v24, v24, v31 op_sel_hi:[1,1,0]
	v_fma_mix_f32 v31, v24, v24, v31 op_sel:[1,1,0] op_sel_hi:[1,1,0]
	v_cvt_f32_f16_e32 v24, v28
	s_delay_alu instid0(VALU_DEP_2) | instskip(NEXT) | instid1(VALU_DEP_1)
	v_fma_mix_f32 v31, v25, v25, v31 op_sel_hi:[1,1,0]
	v_fma_mix_f32 v31, v25, v25, v31 op_sel:[1,1,0] op_sel_hi:[1,1,0]
	;; [unrolled: 4-line block ×3, first 2 shown]
	s_delay_alu instid0(VALU_DEP_1) | instskip(NEXT) | instid1(VALU_DEP_1)
	v_fma_mix_f32 v31, v27, v27, v31 op_sel_hi:[1,1,0]
	v_fma_mix_f32 v31, v27, v27, v31 op_sel:[1,1,0] op_sel_hi:[1,1,0]
	s_delay_alu instid0(VALU_DEP_1) | instskip(NEXT) | instid1(VALU_DEP_1)
	v_fma_mix_f32 v31, v28, v28, v31 op_sel_hi:[1,1,0]
	v_fma_mix_f32 v31, v28, v28, v31 op_sel:[1,1,0] op_sel_hi:[1,1,0]
	v_lshrrev_b32_e32 v28, 16, v28
	s_delay_alu instid0(VALU_DEP_2) | instskip(NEXT) | instid1(VALU_DEP_2)
	v_fma_mix_f32 v31, v29, v29, v31 op_sel_hi:[1,1,0]
	v_cvt_f32_f16_e32 v37, v28
	v_cvt_f32_f16_e32 v28, v56
	s_delay_alu instid0(VALU_DEP_3) | instskip(SKIP_1) | instid1(VALU_DEP_2)
	v_fma_mix_f32 v31, v29, v29, v31 op_sel:[1,1,0] op_sel_hi:[1,1,0]
	v_lshrrev_b32_e32 v29, 16, v29
	v_fma_mix_f32 v31, v30, v30, v31 op_sel_hi:[1,1,0]
	s_delay_alu instid0(VALU_DEP_2) | instskip(SKIP_1) | instid1(VALU_DEP_3)
	v_cvt_f32_f16_e32 v36, v29
	v_cvt_f32_f16_e32 v29, v55
	v_fma_mix_f32 v31, v30, v30, v31 op_sel:[1,1,0] op_sel_hi:[1,1,0]
	v_lshrrev_b32_e32 v30, 16, v30
	s_delay_alu instid0(VALU_DEP_2) | instskip(NEXT) | instid1(VALU_DEP_2)
	v_fma_mix_f32 v31, v43, v43, v31 op_sel_hi:[1,1,0]
	v_cvt_f32_f16_e32 v35, v30
	v_cvt_f32_f16_e32 v30, v54
	s_delay_alu instid0(VALU_DEP_3) | instskip(NEXT) | instid1(VALU_DEP_1)
	v_fma_mix_f32 v31, v43, v43, v31 op_sel:[1,1,0] op_sel_hi:[1,1,0]
	v_fma_mix_f32 v31, v44, v44, v31 op_sel_hi:[1,1,0]
	s_delay_alu instid0(VALU_DEP_1) | instskip(SKIP_3) | instid1(VALU_DEP_4)
	v_fma_mix_f32 v19, v44, v44, v31 op_sel:[1,1,0] op_sel_hi:[1,1,0]
	v_cvt_f32_f16_e32 v31, v26
	v_cvt_f32_f16_e32 v26, v27
	v_lshrrev_b32_e32 v27, 16, v27
	v_fma_mix_f32 v19, v45, v45, v19 op_sel_hi:[1,1,0]
	s_delay_alu instid0(VALU_DEP_1) | instskip(NEXT) | instid1(VALU_DEP_1)
	v_fma_mix_f32 v19, v45, v45, v19 op_sel:[1,1,0] op_sel_hi:[1,1,0]
	v_fma_mix_f32 v19, v46, v46, v19 op_sel_hi:[1,1,0]
	s_delay_alu instid0(VALU_DEP_1) | instskip(NEXT) | instid1(VALU_DEP_1)
	v_fma_mix_f32 v19, v46, v46, v19 op_sel:[1,1,0] op_sel_hi:[1,1,0]
	v_mov_b32_dpp v21, v19 quad_perm:[1,0,3,2] row_mask:0xf bank_mask:0xf
	s_delay_alu instid0(VALU_DEP_1)
	v_dual_add_f32 v43, v19, v21 :: v_dual_and_b32 v52, 31, v0
	v_cvt_f32_f16_e32 v21, v45
	v_cvt_f32_f16_e32 v45, v50
	;; [unrolled: 1-line block ×4, first 2 shown]
	v_mov_b32_dpp v44, v43 quad_perm:[2,3,0,1] row_mask:0xf bank_mask:0xf
	v_cvt_f32_f16_e32 v39, v27
	v_cvt_f32_f16_e32 v27, v57
	s_delay_alu instid0(VALU_DEP_3) | instskip(SKIP_2) | instid1(VALU_DEP_3)
	v_add_f32_e32 v58, v43, v44
	v_cvt_f32_f16_e32 v44, v51
	v_cvt_f32_f16_e32 v43, v53
	v_mov_b32_dpp v50, v58 row_xmask:7 row_mask:0xf bank_mask:0xf
	s_delay_alu instid0(VALU_DEP_1) | instskip(NEXT) | instid1(VALU_DEP_1)
	v_add_f32_e32 v50, v58, v50
	v_mov_b32_dpp v51, v50 row_xmask:15 row_mask:0xf bank_mask:0xf
	v_cmpx_eq_u32_e32 31, v52
	s_cbranch_execz .LBB23_3
; %bb.2:
	v_lshrrev_b32_e32 v52, 3, v0
	s_delay_alu instid0(VALU_DEP_3)
	v_add_f32_e32 v50, v50, v51
	s_mov_b32 s9, 0x76543210
	s_delay_alu instid0(VALU_DEP_1) | instid1(SALU_CYCLE_1)
	v_permlanex16_b32 v51, v50, s9, 0xfedcba98 op_sel:[1,1]
	s_delay_alu instid0(VALU_DEP_1)
	v_dual_add_f32 v50, v50, v51 :: v_dual_and_b32 v51, 0x7c, v52
	ds_store_b32 v51, v50
.LBB23_3:
	s_or_b32 exec_lo, exec_lo, s8
	v_and_b32_e32 v0, 7, v0
	s_waitcnt vmcnt(0) lgkmcnt(0)
	s_barrier
	buffer_gl0_inv
	v_cvt_f32_i32_e32 v51, s7
	v_lshlrev_b32_e32 v0, 2, v0
	ds_load_b32 v0, v0
	s_waitcnt lgkmcnt(0)
	v_mov_b32_dpp v50, v0 quad_perm:[1,0,3,2] row_mask:0xf bank_mask:0xf
	s_delay_alu instid0(VALU_DEP_1) | instskip(NEXT) | instid1(VALU_DEP_1)
	v_add_f32_e32 v0, v0, v50
	v_mov_b32_dpp v50, v0 quad_perm:[2,3,0,1] row_mask:0xf bank_mask:0xf
	s_delay_alu instid0(VALU_DEP_1) | instskip(NEXT) | instid1(VALU_DEP_1)
	v_add_f32_e32 v0, v0, v50
	v_mov_b32_dpp v50, v0 row_xmask:7 row_mask:0xf bank_mask:0xf
	s_delay_alu instid0(VALU_DEP_1) | instskip(NEXT) | instid1(VALU_DEP_1)
	v_add_f32_e32 v0, v0, v50
	v_div_scale_f32 v50, null, v51, v51, v0
	v_div_scale_f32 v54, vcc_lo, v0, v51, v0
	s_delay_alu instid0(VALU_DEP_2) | instskip(SKIP_2) | instid1(VALU_DEP_1)
	v_rcp_f32_e32 v52, v50
	s_waitcnt_depctr 0xfff
	v_fma_f32 v53, -v50, v52, 1.0
	v_fmac_f32_e32 v52, v53, v52
	s_delay_alu instid0(VALU_DEP_1) | instskip(NEXT) | instid1(VALU_DEP_1)
	v_mul_f32_e32 v53, v54, v52
	v_fma_f32 v55, -v50, v53, v54
	s_delay_alu instid0(VALU_DEP_1) | instskip(NEXT) | instid1(VALU_DEP_1)
	v_fmac_f32_e32 v53, v55, v52
	v_fma_f32 v50, -v50, v53, v54
	v_mov_b32_e32 v54, s4
	s_delay_alu instid0(VALU_DEP_2) | instskip(NEXT) | instid1(VALU_DEP_2)
	v_div_fmas_f32 v50, v50, v52, v53
	v_cndmask_b32_e64 v52, s5, v54, s2
	s_and_b32 s2, s2, exec_lo
	s_cselect_b32 s4, s11, s6
	s_cselect_b32 s2, s17, s19
	v_div_fixup_f32 v0, v50, v51, v0
	s_cselect_b32 s6, s16, s18
	s_ashr_i32 s5, s4, 31
	s_mul_hi_u32 s7, s4, s14
	s_mul_i32 s5, s5, s14
	v_add_f32_e32 v0, v52, v0
	s_mul_i32 s4, s4, s14
	s_add_i32 s5, s7, s5
	s_delay_alu instid0(SALU_CYCLE_1) | instskip(NEXT) | instid1(VALU_DEP_1)
	s_lshl_b64 s[4:5], s[4:5], 1
	v_mul_f32_e32 v50, 0x4b800000, v0
	v_cmp_gt_f32_e32 vcc_lo, 0x800000, v0
	s_add_u32 s20, s6, s4
	s_addc_u32 s2, s2, s5
	s_delay_alu instid0(SALU_CYCLE_1) | instskip(SKIP_1) | instid1(VALU_DEP_1)
	s_and_b32 s21, s2, 0xffff
	v_cndmask_b32_e32 v0, v0, v50, vcc_lo
	v_rsq_f32_e32 v0, v0
	s_waitcnt_depctr 0xfff
	v_mul_f32_e32 v50, 0x45800000, v0
	s_delay_alu instid0(VALU_DEP_1) | instskip(NEXT) | instid1(VALU_DEP_1)
	v_cndmask_b32_e32 v0, v0, v50, vcc_lo
	v_mul_f32_e32 v33, v0, v33
	v_mul_f32_e32 v50, v0, v18
	v_mul_f32_e32 v18, v0, v42
	v_mul_f32_e32 v42, v0, v49
	v_mul_f32_e32 v40, v0, v40
	v_mul_f32_e32 v48, v0, v48
	v_mul_f32_e32 v41, v0, v41
	v_mul_f32_e32 v47, v0, v47
	v_mul_f32_e32 v38, v0, v38
	v_mul_f32_e32 v46, v0, v46
	v_mul_f32_e32 v34, v0, v34
	v_mul_f32_e32 v45, v0, v45
	v_mul_f32_e32 v32, v0, v32
	v_mul_f32_e32 v44, v0, v44
	v_mul_f32_e32 v43, v0, v43
	v_mul_f32_e32 v31, v0, v31
	v_mul_f32_e32 v39, v0, v39
	v_mul_f32_e32 v26, v0, v26
	v_mul_f32_e32 v37, v0, v37
	v_mul_f32_e32 v49, v0, v24
	v_mul_f32_e32 v36, v0, v36
	v_mul_f32_e32 v51, v0, v25
	v_mul_f32_e32 v35, v0, v35
	v_mul_f32_e32 v52, v0, v23
	v_mul_f32_e32 v53, v0, v30
	v_mul_f32_e32 v30, v0, v22
	v_mul_f32_e32 v54, v0, v29
	v_mul_f32_e32 v55, v0, v20
	v_mul_f32_e32 v56, v0, v28
	v_mul_f32_e32 v57, v0, v21
	v_mul_f32_e32 v58, v0, v27
	v_mul_f32_e32 v0, v0, v19
	v_fma_mixlo_f16 v18, v18, v13, 0 op_sel_hi:[0,1,0]
	v_fma_mixlo_f16 v19, v40, v14, 0 op_sel_hi:[0,1,0]
	;; [unrolled: 1-line block ×16, first 2 shown]
	v_fma_mixhi_f16 v21, v47, v16, 0 op_sel:[0,1,0] op_sel_hi:[0,1,0]
	v_fma_mixhi_f16 v20, v48, v15, 0 op_sel:[0,1,0] op_sel_hi:[0,1,0]
	;; [unrolled: 1-line block ×16, first 2 shown]
	buffer_store_b128 v[18:21], v17, s[20:23], 0 offen
	;;#ASMSTART
	s_nop 0
	;;#ASMEND
	buffer_store_b128 v[22:25], v17, s[20:23], s1 offen
	;;#ASMSTART
	s_nop 0
	;;#ASMEND
	;; [unrolled: 4-line block ×4, first 2 shown]
.LBB23_4:
	s_nop 0
	s_sendmsg sendmsg(MSG_DEALLOC_VGPRS)
	s_endpgm
	.section	.rodata,"a",@progbits
	.p2align	6, 0x0
	.amdhsa_kernel _ZN5aiter23fused_qk_rmsnorm_kernelIDF16_Li256ELi32ELb1ELi1EEEvPT_S2_PKS1_S4_S4_S4_ffiiiiiii
		.amdhsa_group_segment_fixed_size 32
		.amdhsa_private_segment_fixed_size 0
		.amdhsa_kernarg_size 84
		.amdhsa_user_sgpr_count 14
		.amdhsa_user_sgpr_dispatch_ptr 0
		.amdhsa_user_sgpr_queue_ptr 0
		.amdhsa_user_sgpr_kernarg_segment_ptr 1
		.amdhsa_user_sgpr_dispatch_id 0
		.amdhsa_user_sgpr_private_segment_size 0
		.amdhsa_wavefront_size32 1
		.amdhsa_uses_dynamic_stack 0
		.amdhsa_enable_private_segment 0
		.amdhsa_system_sgpr_workgroup_id_x 1
		.amdhsa_system_sgpr_workgroup_id_y 1
		.amdhsa_system_sgpr_workgroup_id_z 0
		.amdhsa_system_sgpr_workgroup_info 0
		.amdhsa_system_vgpr_workitem_id 0
		.amdhsa_next_free_vgpr 59
		.amdhsa_next_free_sgpr 28
		.amdhsa_reserve_vcc 1
		.amdhsa_float_round_mode_32 0
		.amdhsa_float_round_mode_16_64 0
		.amdhsa_float_denorm_mode_32 3
		.amdhsa_float_denorm_mode_16_64 3
		.amdhsa_dx10_clamp 1
		.amdhsa_ieee_mode 1
		.amdhsa_fp16_overflow 0
		.amdhsa_workgroup_processor_mode 1
		.amdhsa_memory_ordered 1
		.amdhsa_forward_progress 0
		.amdhsa_shared_vgpr_count 0
		.amdhsa_exception_fp_ieee_invalid_op 0
		.amdhsa_exception_fp_denorm_src 0
		.amdhsa_exception_fp_ieee_div_zero 0
		.amdhsa_exception_fp_ieee_overflow 0
		.amdhsa_exception_fp_ieee_underflow 0
		.amdhsa_exception_fp_ieee_inexact 0
		.amdhsa_exception_int_div_zero 0
	.end_amdhsa_kernel
	.section	.text._ZN5aiter23fused_qk_rmsnorm_kernelIDF16_Li256ELi32ELb1ELi1EEEvPT_S2_PKS1_S4_S4_S4_ffiiiiiii,"axG",@progbits,_ZN5aiter23fused_qk_rmsnorm_kernelIDF16_Li256ELi32ELb1ELi1EEEvPT_S2_PKS1_S4_S4_S4_ffiiiiiii,comdat
.Lfunc_end23:
	.size	_ZN5aiter23fused_qk_rmsnorm_kernelIDF16_Li256ELi32ELb1ELi1EEEvPT_S2_PKS1_S4_S4_S4_ffiiiiiii, .Lfunc_end23-_ZN5aiter23fused_qk_rmsnorm_kernelIDF16_Li256ELi32ELb1ELi1EEEvPT_S2_PKS1_S4_S4_S4_ffiiiiiii
                                        ; -- End function
	.section	.AMDGPU.csdata,"",@progbits
; Kernel info:
; codeLenInByte = 1788
; NumSgprs: 30
; NumVgprs: 59
; ScratchSize: 0
; MemoryBound: 0
; FloatMode: 240
; IeeeMode: 1
; LDSByteSize: 32 bytes/workgroup (compile time only)
; SGPRBlocks: 3
; VGPRBlocks: 7
; NumSGPRsForWavesPerEU: 30
; NumVGPRsForWavesPerEU: 59
; Occupancy: 16
; WaveLimiterHint : 0
; COMPUTE_PGM_RSRC2:SCRATCH_EN: 0
; COMPUTE_PGM_RSRC2:USER_SGPR: 14
; COMPUTE_PGM_RSRC2:TRAP_HANDLER: 0
; COMPUTE_PGM_RSRC2:TGID_X_EN: 1
; COMPUTE_PGM_RSRC2:TGID_Y_EN: 1
; COMPUTE_PGM_RSRC2:TGID_Z_EN: 0
; COMPUTE_PGM_RSRC2:TIDIG_COMP_CNT: 0
	.section	.text._ZN5aiter23fused_qk_rmsnorm_kernelItLi256ELi32ELb1ELi1EEEvPT_S2_PKS1_S4_S4_S4_ffiiiiiii,"axG",@progbits,_ZN5aiter23fused_qk_rmsnorm_kernelItLi256ELi32ELb1ELi1EEEvPT_S2_PKS1_S4_S4_S4_ffiiiiiii,comdat
	.protected	_ZN5aiter23fused_qk_rmsnorm_kernelItLi256ELi32ELb1ELi1EEEvPT_S2_PKS1_S4_S4_S4_ffiiiiiii ; -- Begin function _ZN5aiter23fused_qk_rmsnorm_kernelItLi256ELi32ELb1ELi1EEEvPT_S2_PKS1_S4_S4_S4_ffiiiiiii
	.globl	_ZN5aiter23fused_qk_rmsnorm_kernelItLi256ELi32ELb1ELi1EEEvPT_S2_PKS1_S4_S4_S4_ffiiiiiii
	.p2align	8
	.type	_ZN5aiter23fused_qk_rmsnorm_kernelItLi256ELi32ELb1ELi1EEEvPT_S2_PKS1_S4_S4_S4_ffiiiiiii,@function
_ZN5aiter23fused_qk_rmsnorm_kernelItLi256ELi32ELb1ELi1EEEvPT_S2_PKS1_S4_S4_S4_ffiiiiiii: ; @_ZN5aiter23fused_qk_rmsnorm_kernelItLi256ELi32ELb1ELi1EEEvPT_S2_PKS1_S4_S4_S4_ffiiiiiii
; %bb.0:
	s_load_b256 s[4:11], s[0:1], 0x30
	s_mov_b32 s2, s15
	s_mov_b32 s15, 0
	s_waitcnt lgkmcnt(0)
	s_ashr_i32 s13, s6, 31
	s_mov_b32 s12, s6
	s_delay_alu instid0(SALU_CYCLE_1) | instskip(NEXT) | instid1(VALU_DEP_1)
	v_cmp_ge_i64_e64 s3, s[14:15], s[12:13]
	s_and_b32 vcc_lo, exec_lo, s3
	s_cbranch_vccnz .LBB24_4
; %bb.1:
	s_clause 0x1
	s_load_b256 s[16:23], s[0:1], 0x0
	s_load_b128 s[24:27], s[0:1], 0x20
	s_cmp_eq_u32 s2, 0
	s_load_b32 s6, s[0:1], 0x50
	s_cselect_b32 s2, -1, 0
	v_lshlrev_b32_e32 v1, 6, v0
	s_and_b32 s0, s2, exec_lo
	s_cselect_b32 s0, s9, s10
	s_cselect_b32 s7, s7, s8
	s_mul_hi_u32 s10, s0, s14
	v_lshlrev_b32_e32 v2, 4, v0
	v_and_b32_e32 v1, 0xf800, v1
	s_delay_alu instid0(VALU_DEP_1)
	v_and_or_b32 v17, 0x1f0, v2, v1
	s_waitcnt lgkmcnt(0)
	s_cselect_b32 s3, s21, s23
	s_cselect_b32 s8, s20, s22
	;; [unrolled: 1-line block ×4, first 2 shown]
	s_ashr_i32 s1, s0, 31
	s_mul_i32 s0, s0, s14
	s_mul_i32 s1, s1, s14
	s_mov_b32 s23, -1
	s_add_i32 s1, s10, s1
	s_mov_b32 s27, s23
	s_lshl_b64 s[0:1], s[0:1], 1
	s_delay_alu instid0(SALU_CYCLE_1)
	s_add_u32 s24, s8, s0
	s_addc_u32 s0, s3, s1
	s_add_i32 s1, s7, 1
	s_and_b32 s25, s0, 0xffff
	s_lshr_b32 s3, s1, 31
	s_movk_i32 s0, 0x600
	s_add_i32 s1, s1, s3
	s_movk_i32 s3, 0x400
	s_lshl_b32 s1, s1, 1
	s_and_b32 s21, s9, 0xffff
	s_and_b32 s22, s1, -4
	s_movk_i32 s1, 0x200
	s_mov_b32 s26, s22
	s_mov_b32 s8, exec_lo
	s_clause 0x3
	buffer_load_b128 v[19:22], v17, s[24:27], 0 offen glc slc
	buffer_load_b128 v[50:53], v17, s[24:27], s0 offen glc slc
	;; [unrolled: 1-line block ×4, first 2 shown]
	s_clause 0x3
	buffer_load_b128 v[13:16], v17, s[20:23], 0 offen
	buffer_load_b128 v[9:12], v17, s[20:23], s1 offen
	;; [unrolled: 1-line block ×4, first 2 shown]
	s_waitcnt vmcnt(7)
	v_and_b32_e32 v18, 0xffff0000, v19
	v_lshlrev_b32_e32 v24, 16, v20
	v_lshlrev_b32_e32 v19, 16, v19
	v_and_b32_e32 v26, 0xffff0000, v20
	v_lshlrev_b32_e32 v32, 16, v22
	v_mul_f32_e32 v54, v18, v18
	s_waitcnt vmcnt(5)
	v_lshlrev_b32_e32 v28, 16, v38
	v_and_b32_e32 v30, 0xffff0000, v38
	v_and_b32_e32 v36, 0xffff0000, v39
	v_lshlrev_b32_e32 v42, 16, v41
	v_fmac_f32_e32 v54, v19, v19
	v_and_b32_e32 v44, 0xffff0000, v41
	v_lshlrev_b32_e32 v38, 16, v40
	v_and_b32_e32 v40, 0xffff0000, v40
	v_and_b32_e32 v20, 0xffff0000, v50
	v_dual_fmac_f32 v54, v24, v24 :: v_dual_lshlrev_b32 v27, 16, v21
	v_lshlrev_b32_e32 v34, 16, v53
	v_and_b32_e32 v35, 0xffff0000, v22
	v_lshlrev_b32_e32 v22, 16, v51
	s_delay_alu instid0(VALU_DEP_4) | instskip(SKIP_3) | instid1(VALU_DEP_3)
	v_dual_fmac_f32 v54, v26, v26 :: v_dual_and_b32 v29, 0xffff0000, v21
	v_lshlrev_b32_e32 v33, 16, v39
	s_waitcnt vmcnt(4)
	v_lshlrev_b32_e32 v39, 16, v46
	v_dual_fmac_f32 v54, v27, v27 :: v_dual_and_b32 v41, 0xffff0000, v46
	v_lshlrev_b32_e32 v46, 16, v48
	v_lshlrev_b32_e32 v43, 16, v47
	v_and_b32_e32 v45, 0xffff0000, v47
	s_delay_alu instid0(VALU_DEP_4) | instskip(SKIP_3) | instid1(VALU_DEP_4)
	v_dual_fmac_f32 v54, v29, v29 :: v_dual_and_b32 v47, 0xffff0000, v48
	v_lshlrev_b32_e32 v48, 16, v49
	v_and_b32_e32 v49, 0xffff0000, v49
	v_and_b32_e32 v23, 0xffff0000, v51
	v_dual_fmac_f32 v54, v32, v32 :: v_dual_lshlrev_b32 v21, 16, v50
	v_lshlrev_b32_e32 v25, 16, v52
	v_and_b32_e32 v37, 0xffff0000, v53
	v_and_b32_e32 v31, 0xffff0000, v52
	v_and_b32_e32 v52, 31, v0
	v_fmac_f32_e32 v54, v35, v35
	s_delay_alu instid0(VALU_DEP_1) | instskip(NEXT) | instid1(VALU_DEP_1)
	v_fmac_f32_e32 v54, v28, v28
	v_fmac_f32_e32 v54, v30, v30
	s_delay_alu instid0(VALU_DEP_1) | instskip(NEXT) | instid1(VALU_DEP_1)
	v_fmac_f32_e32 v54, v33, v33
	;; [unrolled: 3-line block ×12, first 2 shown]
	v_fmac_f32_e32 v54, v37, v37
	s_delay_alu instid0(VALU_DEP_1) | instskip(NEXT) | instid1(VALU_DEP_1)
	v_mov_b32_dpp v50, v54 quad_perm:[1,0,3,2] row_mask:0xf bank_mask:0xf
	v_add_f32_e32 v50, v54, v50
	s_delay_alu instid0(VALU_DEP_1) | instskip(NEXT) | instid1(VALU_DEP_1)
	v_mov_b32_dpp v51, v50 quad_perm:[2,3,0,1] row_mask:0xf bank_mask:0xf
	v_add_f32_e32 v50, v50, v51
	s_delay_alu instid0(VALU_DEP_1) | instskip(NEXT) | instid1(VALU_DEP_1)
	v_mov_b32_dpp v51, v50 row_xmask:7 row_mask:0xf bank_mask:0xf
	v_add_f32_e32 v50, v50, v51
	s_delay_alu instid0(VALU_DEP_1)
	v_mov_b32_dpp v51, v50 row_xmask:15 row_mask:0xf bank_mask:0xf
	v_cmpx_eq_u32_e32 31, v52
	s_cbranch_execz .LBB24_3
; %bb.2:
	v_lshrrev_b32_e32 v52, 3, v0
	s_delay_alu instid0(VALU_DEP_3)
	v_add_f32_e32 v50, v50, v51
	s_mov_b32 s9, 0x76543210
	s_delay_alu instid0(VALU_DEP_1) | instid1(SALU_CYCLE_1)
	v_permlanex16_b32 v51, v50, s9, 0xfedcba98 op_sel:[1,1]
	s_delay_alu instid0(VALU_DEP_1)
	v_dual_add_f32 v50, v50, v51 :: v_dual_and_b32 v51, 0x7c, v52
	ds_store_b32 v51, v50
.LBB24_3:
	s_or_b32 exec_lo, exec_lo, s8
	v_and_b32_e32 v0, 7, v0
	s_waitcnt vmcnt(0) lgkmcnt(0)
	s_barrier
	buffer_gl0_inv
	v_lshrrev_b32_e32 v53, 16, v13
	v_lshlrev_b32_e32 v0, 2, v0
	v_lshrrev_b32_e32 v56, 16, v15
	v_cvt_f32_i32_e32 v51, s7
	v_lshrrev_b32_e32 v58, 16, v9
	v_lshrrev_b32_e32 v54, 16, v14
	ds_load_b32 v0, v0
	v_lshrrev_b32_e32 v60, 16, v11
	v_lshrrev_b32_e32 v66, 16, v7
	;; [unrolled: 1-line block ×6, first 2 shown]
	s_and_b32 s7, s2, exec_lo
	v_lshrrev_b32_e32 v59, 16, v10
	v_lshrrev_b32_e32 v67, 16, v8
	;; [unrolled: 1-line block ×3, first 2 shown]
	s_cselect_b32 s7, s17, s19
	v_and_b32_e32 v13, 0xffff, v13
	v_and_b32_e32 v15, 0xffff, v15
	;; [unrolled: 1-line block ×4, first 2 shown]
	s_delay_alu instid0(VALU_DEP_4) | instskip(NEXT) | instid1(VALU_DEP_4)
	v_cvt_f32_u32_e32 v13, v13
	v_cvt_f32_u32_e32 v15, v15
	s_delay_alu instid0(VALU_DEP_4) | instskip(SKIP_3) | instid1(VALU_DEP_2)
	v_cvt_f32_u32_e32 v9, v9
	s_waitcnt lgkmcnt(0)
	v_mov_b32_dpp v50, v0 quad_perm:[1,0,3,2] row_mask:0xf bank_mask:0xf
	v_cvt_f32_u32_e32 v11, v11
	v_add_f32_e32 v0, v0, v50
	s_delay_alu instid0(VALU_DEP_1) | instskip(NEXT) | instid1(VALU_DEP_1)
	v_mov_b32_dpp v50, v0 quad_perm:[2,3,0,1] row_mask:0xf bank_mask:0xf
	v_add_f32_e32 v0, v0, v50
	s_delay_alu instid0(VALU_DEP_1) | instskip(NEXT) | instid1(VALU_DEP_1)
	v_mov_b32_dpp v50, v0 row_xmask:7 row_mask:0xf bank_mask:0xf
	v_add_f32_e32 v0, v0, v50
	v_mov_b32_e32 v50, s4
	s_cselect_b32 s4, s11, s6
	s_cselect_b32 s6, s16, s18
	s_ashr_i32 s8, s4, 31
	v_div_scale_f32 v52, null, v51, v51, v0
	v_div_scale_f32 v63, vcc_lo, v0, v51, v0
	v_cndmask_b32_e64 v50, s5, v50, s2
	s_delay_alu instid0(VALU_DEP_3) | instskip(SKIP_4) | instid1(SALU_CYCLE_1)
	v_rcp_f32_e32 v55, v52
	s_mul_hi_u32 s9, s4, s14
	s_mul_i32 s8, s8, s14
	s_mul_i32 s4, s4, s14
	s_add_i32 s5, s9, s8
	s_lshl_b64 s[4:5], s[4:5], 1
	s_delay_alu instid0(SALU_CYCLE_1) | instskip(SKIP_4) | instid1(VALU_DEP_1)
	s_add_u32 s20, s6, s4
	s_addc_u32 s2, s7, s5
	s_waitcnt_depctr 0xfff
	v_fma_f32 v61, -v52, v55, 1.0
	s_and_b32 s21, s2, 0xffff
	v_fmac_f32_e32 v55, v61, v55
	v_lshrrev_b32_e32 v61, 16, v5
	s_delay_alu instid0(VALU_DEP_2) | instskip(NEXT) | instid1(VALU_DEP_1)
	v_mul_f32_e32 v65, v63, v55
	v_fma_f32 v68, -v52, v65, v63
	s_delay_alu instid0(VALU_DEP_1) | instskip(SKIP_1) | instid1(VALU_DEP_2)
	v_dual_fmac_f32 v65, v68, v55 :: v_dual_and_b32 v14, 0xffff, v14
	v_lshrrev_b32_e32 v68, 16, v3
	v_cvt_f32_u32_e32 v14, v14
	v_and_b32_e32 v3, 0xffff, v3
	s_delay_alu instid0(VALU_DEP_4) | instskip(SKIP_1) | instid1(VALU_DEP_3)
	v_fma_f32 v52, -v52, v65, v63
	v_cvt_f32_u32_e32 v63, v69
	v_cvt_f32_u32_e32 v3, v3
	s_delay_alu instid0(VALU_DEP_3) | instskip(SKIP_3) | instid1(VALU_DEP_4)
	v_div_fmas_f32 v52, v52, v55, v65
	v_cvt_f32_u32_e32 v55, v58
	v_cvt_f32_u32_e32 v58, v61
	;; [unrolled: 1-line block ×3, first 2 shown]
	v_div_fixup_f32 v0, v52, v51, v0
	v_and_b32_e32 v5, 0xffff, v5
	v_cvt_f32_u32_e32 v52, v54
	v_cvt_f32_u32_e32 v51, v53
	;; [unrolled: 1-line block ×3, first 2 shown]
	v_add_f32_e32 v0, v50, v0
	v_cvt_f32_u32_e32 v57, v62
	v_cvt_f32_u32_e32 v5, v5
	;; [unrolled: 1-line block ×4, first 2 shown]
	v_mul_f32_e32 v54, 0x4b800000, v0
	v_cmp_gt_f32_e32 vcc_lo, 0x800000, v0
	v_and_b32_e32 v7, 0xffff, v7
	v_cvt_f32_u32_e32 v59, v64
	s_delay_alu instid0(VALU_DEP_4) | instskip(SKIP_3) | instid1(VALU_DEP_4)
	v_cndmask_b32_e32 v0, v0, v54, vcc_lo
	v_cvt_f32_u32_e32 v54, v60
	v_cvt_f32_u32_e32 v60, v66
	;; [unrolled: 1-line block ×3, first 2 shown]
	v_rsq_f32_e32 v0, v0
	s_waitcnt_depctr 0xfff
	v_mul_f32_e32 v62, 0x45800000, v0
	s_delay_alu instid0(VALU_DEP_1) | instskip(SKIP_3) | instid1(VALU_DEP_4)
	v_dual_cndmask_b32 v0, v0, v62 :: v_dual_and_b32 v1, 0xffff, v1
	v_and_b32_e32 v12, 0xffff, v12
	v_and_b32_e32 v16, 0xffff, v16
	v_and_b32_e32 v6, 0xffff, v6
	v_dual_mul_f32 v29, v0, v29 :: v_dual_and_b32 v10, 0xffff, v10
	v_mul_f32_e32 v27, v0, v27
	v_mul_f32_e32 v26, v0, v26
	;; [unrolled: 1-line block ×4, first 2 shown]
	v_cvt_f32_u32_e32 v16, v16
	v_dual_mul_f32 v15, v27, v15 :: v_dual_mul_f32 v18, v0, v18
	s_delay_alu instid0(VALU_DEP_4)
	v_dual_mul_f32 v32, v0, v32 :: v_dual_mul_f32 v13, v19, v13
	v_mul_f32_e32 v30, v0, v30
	v_mul_f32_e32 v24, v0, v24
	;; [unrolled: 1-line block ×3, first 2 shown]
	v_dual_mul_f32 v19, v26, v52 :: v_dual_mul_f32 v26, v35, v53
	v_dual_mul_f32 v41, v0, v41 :: v_dual_mul_f32 v18, v18, v51
	v_dual_mul_f32 v33, v0, v33 :: v_dual_and_b32 v8, 0xffff, v8
	v_dual_mul_f32 v49, v0, v49 :: v_dual_and_b32 v2, 0xffff, v2
	v_cvt_f32_u32_e32 v6, v6
	v_cvt_f32_u32_e32 v1, v1
	v_mul_f32_e32 v43, v0, v43
	v_dual_mul_f32 v16, v32, v16 :: v_dual_mul_f32 v27, v30, v55
	v_mul_f32_e32 v14, v24, v14
	v_mul_f32_e32 v24, v29, v50
	;; [unrolled: 1-line block ×3, first 2 shown]
	v_perm_b32 v5, v18, v13, 0x7060302
	v_mul_f32_e32 v13, v0, v31
	v_mul_f32_e32 v18, v0, v21
	v_cvt_f32_u32_e32 v10, v10
	v_cvt_f32_u32_e32 v8, v8
	v_mul_f32_e32 v40, v0, v40
	v_mul_f32_e32 v38, v0, v38
	v_dual_mul_f32 v36, v0, v36 :: v_dual_mul_f32 v35, v43, v6
	v_mul_f32_e32 v48, v0, v48
	v_mul_f32_e32 v47, v0, v47
	;; [unrolled: 1-line block ×3, first 2 shown]
	v_perm_b32 v6, v19, v14, 0x7060302
	v_cvt_f32_u32_e32 v2, v2
	v_dual_mul_f32 v19, v0, v22 :: v_dual_mul_f32 v18, v18, v1
	v_mul_f32_e32 v28, v0, v28
	v_cvt_f32_u32_e32 v12, v12
	v_dual_mul_f32 v42, v0, v42 :: v_dual_mul_f32 v39, v47, v60
	v_mul_f32_e32 v10, v33, v10
	v_mul_f32_e32 v33, v41, v58
	s_delay_alu instid0(VALU_DEP_3)
	v_dual_mul_f32 v29, v40, v54 :: v_dual_mul_f32 v12, v42, v12
	v_dual_mul_f32 v40, v48, v8 :: v_dual_mul_f32 v41, v49, v61
	v_dual_mul_f32 v44, v0, v44 :: v_dual_mul_f32 v11, v38, v11
	v_dual_mul_f32 v38, v46, v7 :: v_dual_mul_f32 v21, v0, v25
	v_perm_b32 v8, v26, v16, 0x7060302
	v_perm_b32 v7, v24, v15, 0x7060302
	v_mul_f32_e32 v1, v19, v2
	v_mul_f32_e32 v9, v28, v9
	;; [unrolled: 1-line block ×3, first 2 shown]
	v_cvt_f32_u32_e32 v62, v70
	buffer_store_b128 v[5:8], v17, s[20:23], 0 offen
	v_lshrrev_b32_e32 v5, 16, v4
	v_and_b32_e32 v4, 0xffff, v4
	v_mul_f32_e32 v28, v36, v56
	v_dual_mul_f32 v36, v45, v59 :: v_dual_mul_f32 v7, v0, v37
	v_cvt_f32_u32_e32 v6, v68
	v_cvt_f32_u32_e32 v5, v5
	;; [unrolled: 1-line block ×3, first 2 shown]
	v_mul_f32_e32 v8, v0, v34
	v_mul_f32_e32 v22, v0, v23
	;; [unrolled: 1-line block ×4, first 2 shown]
	s_delay_alu instid0(VALU_DEP_4)
	v_dual_mul_f32 v2, v21, v3 :: v_dual_mul_f32 v3, v8, v4
	v_dual_mul_f32 v4, v7, v5 :: v_dual_mul_f32 v5, v13, v6
	v_mul_f32_e32 v6, v22, v62
	v_mul_f32_e32 v0, v0, v63
	v_perm_b32 v12, v30, v12, 0x7060302
	v_perm_b32 v11, v29, v11, 0x7060302
	;; [unrolled: 1-line block ×12, first 2 shown]
	;;#ASMSTART
	s_nop 0
	;;#ASMEND
	buffer_store_b128 v[9:12], v17, s[20:23], s1 offen
	;;#ASMSTART
	s_nop 0
	;;#ASMEND
	buffer_store_b128 v[13:16], v17, s[20:23], s3 offen
	;; [unrolled: 4-line block ×3, first 2 shown]
	;;#ASMSTART
	s_nop 0
	;;#ASMEND
.LBB24_4:
	s_nop 0
	s_sendmsg sendmsg(MSG_DEALLOC_VGPRS)
	s_endpgm
	.section	.rodata,"a",@progbits
	.p2align	6, 0x0
	.amdhsa_kernel _ZN5aiter23fused_qk_rmsnorm_kernelItLi256ELi32ELb1ELi1EEEvPT_S2_PKS1_S4_S4_S4_ffiiiiiii
		.amdhsa_group_segment_fixed_size 32
		.amdhsa_private_segment_fixed_size 0
		.amdhsa_kernarg_size 84
		.amdhsa_user_sgpr_count 14
		.amdhsa_user_sgpr_dispatch_ptr 0
		.amdhsa_user_sgpr_queue_ptr 0
		.amdhsa_user_sgpr_kernarg_segment_ptr 1
		.amdhsa_user_sgpr_dispatch_id 0
		.amdhsa_user_sgpr_private_segment_size 0
		.amdhsa_wavefront_size32 1
		.amdhsa_uses_dynamic_stack 0
		.amdhsa_enable_private_segment 0
		.amdhsa_system_sgpr_workgroup_id_x 1
		.amdhsa_system_sgpr_workgroup_id_y 1
		.amdhsa_system_sgpr_workgroup_id_z 0
		.amdhsa_system_sgpr_workgroup_info 0
		.amdhsa_system_vgpr_workitem_id 0
		.amdhsa_next_free_vgpr 71
		.amdhsa_next_free_sgpr 28
		.amdhsa_reserve_vcc 1
		.amdhsa_float_round_mode_32 0
		.amdhsa_float_round_mode_16_64 0
		.amdhsa_float_denorm_mode_32 3
		.amdhsa_float_denorm_mode_16_64 3
		.amdhsa_dx10_clamp 1
		.amdhsa_ieee_mode 1
		.amdhsa_fp16_overflow 0
		.amdhsa_workgroup_processor_mode 1
		.amdhsa_memory_ordered 1
		.amdhsa_forward_progress 0
		.amdhsa_shared_vgpr_count 0
		.amdhsa_exception_fp_ieee_invalid_op 0
		.amdhsa_exception_fp_denorm_src 0
		.amdhsa_exception_fp_ieee_div_zero 0
		.amdhsa_exception_fp_ieee_overflow 0
		.amdhsa_exception_fp_ieee_underflow 0
		.amdhsa_exception_fp_ieee_inexact 0
		.amdhsa_exception_int_div_zero 0
	.end_amdhsa_kernel
	.section	.text._ZN5aiter23fused_qk_rmsnorm_kernelItLi256ELi32ELb1ELi1EEEvPT_S2_PKS1_S4_S4_S4_ffiiiiiii,"axG",@progbits,_ZN5aiter23fused_qk_rmsnorm_kernelItLi256ELi32ELb1ELi1EEEvPT_S2_PKS1_S4_S4_S4_ffiiiiiii,comdat
.Lfunc_end24:
	.size	_ZN5aiter23fused_qk_rmsnorm_kernelItLi256ELi32ELb1ELi1EEEvPT_S2_PKS1_S4_S4_S4_ffiiiiiii, .Lfunc_end24-_ZN5aiter23fused_qk_rmsnorm_kernelItLi256ELi32ELb1ELi1EEEvPT_S2_PKS1_S4_S4_S4_ffiiiiiii
                                        ; -- End function
	.section	.AMDGPU.csdata,"",@progbits
; Kernel info:
; codeLenInByte = 2060
; NumSgprs: 30
; NumVgprs: 71
; ScratchSize: 0
; MemoryBound: 0
; FloatMode: 240
; IeeeMode: 1
; LDSByteSize: 32 bytes/workgroup (compile time only)
; SGPRBlocks: 3
; VGPRBlocks: 8
; NumSGPRsForWavesPerEU: 30
; NumVGPRsForWavesPerEU: 71
; Occupancy: 16
; WaveLimiterHint : 0
; COMPUTE_PGM_RSRC2:SCRATCH_EN: 0
; COMPUTE_PGM_RSRC2:USER_SGPR: 14
; COMPUTE_PGM_RSRC2:TRAP_HANDLER: 0
; COMPUTE_PGM_RSRC2:TGID_X_EN: 1
; COMPUTE_PGM_RSRC2:TGID_Y_EN: 1
; COMPUTE_PGM_RSRC2:TGID_Z_EN: 0
; COMPUTE_PGM_RSRC2:TIDIG_COMP_CNT: 0
	.text
	.p2alignl 7, 3214868480
	.fill 96, 4, 3214868480
	.type	__hip_cuid_28f5c7c206740990,@object ; @__hip_cuid_28f5c7c206740990
	.section	.bss,"aw",@nobits
	.globl	__hip_cuid_28f5c7c206740990
__hip_cuid_28f5c7c206740990:
	.byte	0                               ; 0x0
	.size	__hip_cuid_28f5c7c206740990, 1

	.ident	"AMD clang version 19.0.0git (https://github.com/RadeonOpenCompute/llvm-project roc-6.4.0 25133 c7fe45cf4b819c5991fe208aaa96edf142730f1d)"
	.section	".note.GNU-stack","",@progbits
	.addrsig
	.addrsig_sym __hip_cuid_28f5c7c206740990
	.amdgpu_metadata
---
amdhsa.kernels:
  - .args:           []
    .group_segment_fixed_size: 0
    .kernarg_segment_align: 4
    .kernarg_segment_size: 0
    .language:       OpenCL C
    .language_version:
      - 2
      - 0
    .max_flat_workgroup_size: 1024
    .name:           _ZN7ck_tileL11flush_cacheEv
    .private_segment_fixed_size: 0
    .sgpr_count:     0
    .sgpr_spill_count: 0
    .symbol:         _ZN7ck_tileL11flush_cacheEv.kd
    .uniform_work_group_size: 1
    .uses_dynamic_stack: false
    .vgpr_count:     0
    .vgpr_spill_count: 0
    .wavefront_size: 32
    .workgroup_processor_mode: 1
  - .args:
      - .actual_access:  write_only
        .address_space:  global
        .offset:         0
        .size:           8
        .value_kind:     global_buffer
      - .actual_access:  write_only
        .address_space:  global
        .offset:         8
        .size:           8
        .value_kind:     global_buffer
      - .actual_access:  read_only
        .address_space:  global
        .offset:         16
        .size:           8
        .value_kind:     global_buffer
      - .actual_access:  read_only
        .address_space:  global
        .offset:         24
        .size:           8
        .value_kind:     global_buffer
      - .actual_access:  read_only
        .address_space:  global
        .offset:         32
        .size:           8
        .value_kind:     global_buffer
      - .actual_access:  read_only
        .address_space:  global
        .offset:         40
        .size:           8
        .value_kind:     global_buffer
      - .offset:         48
        .size:           4
        .value_kind:     by_value
      - .offset:         52
        .size:           4
        .value_kind:     by_value
      - .offset:         56
        .size:           4
        .value_kind:     by_value
      - .offset:         60
        .size:           4
        .value_kind:     by_value
      - .offset:         64
        .size:           4
        .value_kind:     by_value
      - .offset:         68
        .size:           4
        .value_kind:     by_value
      - .offset:         72
        .size:           4
        .value_kind:     by_value
      - .offset:         76
        .size:           4
        .value_kind:     by_value
      - .offset:         80
        .size:           4
        .value_kind:     by_value
    .group_segment_fixed_size: 8
    .kernarg_segment_align: 8
    .kernarg_segment_size: 84
    .language:       OpenCL C
    .language_version:
      - 2
      - 0
    .max_flat_workgroup_size: 1024
    .name:           _ZN5aiter23fused_qk_rmsnorm_kernelIDF16_Li64ELi8ELb1ELi4EEEvPT_S2_PKS1_S4_S4_S4_ffiiiiiii
    .private_segment_fixed_size: 0
    .sgpr_count:     34
    .sgpr_spill_count: 0
    .symbol:         _ZN5aiter23fused_qk_rmsnorm_kernelIDF16_Li64ELi8ELb1ELi4EEEvPT_S2_PKS1_S4_S4_S4_ffiiiiiii.kd
    .uniform_work_group_size: 1
    .uses_dynamic_stack: false
    .vgpr_count:     32
    .vgpr_spill_count: 0
    .wavefront_size: 32
    .workgroup_processor_mode: 1
  - .args:
      - .actual_access:  write_only
        .address_space:  global
        .offset:         0
        .size:           8
        .value_kind:     global_buffer
      - .actual_access:  write_only
        .address_space:  global
        .offset:         8
        .size:           8
        .value_kind:     global_buffer
      - .actual_access:  read_only
        .address_space:  global
        .offset:         16
        .size:           8
        .value_kind:     global_buffer
      - .actual_access:  read_only
        .address_space:  global
        .offset:         24
        .size:           8
        .value_kind:     global_buffer
      - .actual_access:  read_only
        .address_space:  global
        .offset:         32
        .size:           8
        .value_kind:     global_buffer
      - .actual_access:  read_only
        .address_space:  global
        .offset:         40
        .size:           8
        .value_kind:     global_buffer
      - .offset:         48
        .size:           4
        .value_kind:     by_value
      - .offset:         52
        .size:           4
        .value_kind:     by_value
      - .offset:         56
        .size:           4
        .value_kind:     by_value
      - .offset:         60
        .size:           4
        .value_kind:     by_value
      - .offset:         64
        .size:           4
        .value_kind:     by_value
      - .offset:         68
        .size:           4
        .value_kind:     by_value
      - .offset:         72
        .size:           4
        .value_kind:     by_value
      - .offset:         76
        .size:           4
        .value_kind:     by_value
      - .offset:         80
        .size:           4
        .value_kind:     by_value
    .group_segment_fixed_size: 8
    .kernarg_segment_align: 8
    .kernarg_segment_size: 84
    .language:       OpenCL C
    .language_version:
      - 2
      - 0
    .max_flat_workgroup_size: 1024
    .name:           _ZN5aiter23fused_qk_rmsnorm_kernelItLi64ELi8ELb1ELi4EEEvPT_S2_PKS1_S4_S4_S4_ffiiiiiii
    .private_segment_fixed_size: 0
    .sgpr_count:     34
    .sgpr_spill_count: 0
    .symbol:         _ZN5aiter23fused_qk_rmsnorm_kernelItLi64ELi8ELb1ELi4EEEvPT_S2_PKS1_S4_S4_S4_ffiiiiiii.kd
    .uniform_work_group_size: 1
    .uses_dynamic_stack: false
    .vgpr_count:     35
    .vgpr_spill_count: 0
    .wavefront_size: 32
    .workgroup_processor_mode: 1
  - .args:
      - .actual_access:  write_only
        .address_space:  global
        .offset:         0
        .size:           8
        .value_kind:     global_buffer
      - .actual_access:  write_only
        .address_space:  global
        .offset:         8
        .size:           8
        .value_kind:     global_buffer
      - .actual_access:  read_only
        .address_space:  global
        .offset:         16
        .size:           8
        .value_kind:     global_buffer
      - .actual_access:  read_only
        .address_space:  global
        .offset:         24
        .size:           8
        .value_kind:     global_buffer
      - .actual_access:  read_only
        .address_space:  global
        .offset:         32
        .size:           8
        .value_kind:     global_buffer
      - .actual_access:  read_only
        .address_space:  global
        .offset:         40
        .size:           8
        .value_kind:     global_buffer
      - .offset:         48
        .size:           4
        .value_kind:     by_value
      - .offset:         52
        .size:           4
        .value_kind:     by_value
      - .offset:         56
        .size:           4
        .value_kind:     by_value
      - .offset:         60
        .size:           4
        .value_kind:     by_value
      - .offset:         64
        .size:           4
        .value_kind:     by_value
      - .offset:         68
        .size:           4
        .value_kind:     by_value
      - .offset:         72
        .size:           4
        .value_kind:     by_value
      - .offset:         76
        .size:           4
        .value_kind:     by_value
      - .offset:         80
        .size:           4
        .value_kind:     by_value
    .group_segment_fixed_size: 8
    .kernarg_segment_align: 8
    .kernarg_segment_size: 84
    .language:       OpenCL C
    .language_version:
      - 2
      - 0
    .max_flat_workgroup_size: 1024
    .name:           _ZN5aiter23fused_qk_rmsnorm_kernelIDF16_Li64ELi8ELb1ELi1EEEvPT_S2_PKS1_S4_S4_S4_ffiiiiiii
    .private_segment_fixed_size: 0
    .sgpr_count:     30
    .sgpr_spill_count: 0
    .symbol:         _ZN5aiter23fused_qk_rmsnorm_kernelIDF16_Li64ELi8ELb1ELi1EEEvPT_S2_PKS1_S4_S4_S4_ffiiiiiii.kd
    .uniform_work_group_size: 1
    .uses_dynamic_stack: false
    .vgpr_count:     20
    .vgpr_spill_count: 0
    .wavefront_size: 32
    .workgroup_processor_mode: 1
  - .args:
      - .actual_access:  write_only
        .address_space:  global
        .offset:         0
        .size:           8
        .value_kind:     global_buffer
      - .actual_access:  write_only
        .address_space:  global
        .offset:         8
        .size:           8
        .value_kind:     global_buffer
      - .actual_access:  read_only
        .address_space:  global
        .offset:         16
        .size:           8
        .value_kind:     global_buffer
      - .actual_access:  read_only
        .address_space:  global
        .offset:         24
        .size:           8
        .value_kind:     global_buffer
      - .actual_access:  read_only
        .address_space:  global
        .offset:         32
        .size:           8
        .value_kind:     global_buffer
      - .actual_access:  read_only
        .address_space:  global
        .offset:         40
        .size:           8
        .value_kind:     global_buffer
      - .offset:         48
        .size:           4
        .value_kind:     by_value
      - .offset:         52
        .size:           4
        .value_kind:     by_value
      - .offset:         56
        .size:           4
        .value_kind:     by_value
      - .offset:         60
        .size:           4
        .value_kind:     by_value
      - .offset:         64
        .size:           4
        .value_kind:     by_value
      - .offset:         68
        .size:           4
        .value_kind:     by_value
      - .offset:         72
        .size:           4
        .value_kind:     by_value
      - .offset:         76
        .size:           4
        .value_kind:     by_value
      - .offset:         80
        .size:           4
        .value_kind:     by_value
    .group_segment_fixed_size: 8
    .kernarg_segment_align: 8
    .kernarg_segment_size: 84
    .language:       OpenCL C
    .language_version:
      - 2
      - 0
    .max_flat_workgroup_size: 1024
    .name:           _ZN5aiter23fused_qk_rmsnorm_kernelItLi64ELi8ELb1ELi1EEEvPT_S2_PKS1_S4_S4_S4_ffiiiiiii
    .private_segment_fixed_size: 0
    .sgpr_count:     30
    .sgpr_spill_count: 0
    .symbol:         _ZN5aiter23fused_qk_rmsnorm_kernelItLi64ELi8ELb1ELi1EEEvPT_S2_PKS1_S4_S4_S4_ffiiiiiii.kd
    .uniform_work_group_size: 1
    .uses_dynamic_stack: false
    .vgpr_count:     20
    .vgpr_spill_count: 0
    .wavefront_size: 32
    .workgroup_processor_mode: 1
  - .args:
      - .actual_access:  write_only
        .address_space:  global
        .offset:         0
        .size:           8
        .value_kind:     global_buffer
      - .actual_access:  write_only
        .address_space:  global
        .offset:         8
        .size:           8
        .value_kind:     global_buffer
      - .actual_access:  read_only
        .address_space:  global
        .offset:         16
        .size:           8
        .value_kind:     global_buffer
      - .actual_access:  read_only
        .address_space:  global
        .offset:         24
        .size:           8
        .value_kind:     global_buffer
      - .actual_access:  read_only
        .address_space:  global
        .offset:         32
        .size:           8
        .value_kind:     global_buffer
      - .actual_access:  read_only
        .address_space:  global
        .offset:         40
        .size:           8
        .value_kind:     global_buffer
      - .offset:         48
        .size:           4
        .value_kind:     by_value
      - .offset:         52
        .size:           4
        .value_kind:     by_value
      - .offset:         56
        .size:           4
        .value_kind:     by_value
      - .offset:         60
        .size:           4
        .value_kind:     by_value
      - .offset:         64
        .size:           4
        .value_kind:     by_value
      - .offset:         68
        .size:           4
        .value_kind:     by_value
      - .offset:         72
        .size:           4
        .value_kind:     by_value
      - .offset:         76
        .size:           4
        .value_kind:     by_value
      - .offset:         80
        .size:           4
        .value_kind:     by_value
    .group_segment_fixed_size: 16
    .kernarg_segment_align: 8
    .kernarg_segment_size: 84
    .language:       OpenCL C
    .language_version:
      - 2
      - 0
    .max_flat_workgroup_size: 1024
    .name:           _ZN5aiter23fused_qk_rmsnorm_kernelIDF16_Li128ELi8ELb1ELi4EEEvPT_S2_PKS1_S4_S4_S4_ffiiiiiii
    .private_segment_fixed_size: 0
    .sgpr_count:     34
    .sgpr_spill_count: 0
    .symbol:         _ZN5aiter23fused_qk_rmsnorm_kernelIDF16_Li128ELi8ELb1ELi4EEEvPT_S2_PKS1_S4_S4_S4_ffiiiiiii.kd
    .uniform_work_group_size: 1
    .uses_dynamic_stack: false
    .vgpr_count:     32
    .vgpr_spill_count: 0
    .wavefront_size: 32
    .workgroup_processor_mode: 1
  - .args:
      - .actual_access:  write_only
        .address_space:  global
        .offset:         0
        .size:           8
        .value_kind:     global_buffer
      - .actual_access:  write_only
        .address_space:  global
        .offset:         8
        .size:           8
        .value_kind:     global_buffer
      - .actual_access:  read_only
        .address_space:  global
        .offset:         16
        .size:           8
        .value_kind:     global_buffer
      - .actual_access:  read_only
        .address_space:  global
        .offset:         24
        .size:           8
        .value_kind:     global_buffer
      - .actual_access:  read_only
        .address_space:  global
        .offset:         32
        .size:           8
        .value_kind:     global_buffer
      - .actual_access:  read_only
        .address_space:  global
        .offset:         40
        .size:           8
        .value_kind:     global_buffer
      - .offset:         48
        .size:           4
        .value_kind:     by_value
      - .offset:         52
        .size:           4
        .value_kind:     by_value
      - .offset:         56
        .size:           4
        .value_kind:     by_value
      - .offset:         60
        .size:           4
        .value_kind:     by_value
      - .offset:         64
        .size:           4
        .value_kind:     by_value
      - .offset:         68
        .size:           4
        .value_kind:     by_value
      - .offset:         72
        .size:           4
        .value_kind:     by_value
      - .offset:         76
        .size:           4
        .value_kind:     by_value
      - .offset:         80
        .size:           4
        .value_kind:     by_value
    .group_segment_fixed_size: 16
    .kernarg_segment_align: 8
    .kernarg_segment_size: 84
    .language:       OpenCL C
    .language_version:
      - 2
      - 0
    .max_flat_workgroup_size: 1024
    .name:           _ZN5aiter23fused_qk_rmsnorm_kernelItLi128ELi8ELb1ELi4EEEvPT_S2_PKS1_S4_S4_S4_ffiiiiiii
    .private_segment_fixed_size: 0
    .sgpr_count:     34
    .sgpr_spill_count: 0
    .symbol:         _ZN5aiter23fused_qk_rmsnorm_kernelItLi128ELi8ELb1ELi4EEEvPT_S2_PKS1_S4_S4_S4_ffiiiiiii.kd
    .uniform_work_group_size: 1
    .uses_dynamic_stack: false
    .vgpr_count:     35
    .vgpr_spill_count: 0
    .wavefront_size: 32
    .workgroup_processor_mode: 1
  - .args:
      - .actual_access:  write_only
        .address_space:  global
        .offset:         0
        .size:           8
        .value_kind:     global_buffer
      - .actual_access:  write_only
        .address_space:  global
        .offset:         8
        .size:           8
        .value_kind:     global_buffer
      - .actual_access:  read_only
        .address_space:  global
        .offset:         16
        .size:           8
        .value_kind:     global_buffer
      - .actual_access:  read_only
        .address_space:  global
        .offset:         24
        .size:           8
        .value_kind:     global_buffer
      - .actual_access:  read_only
        .address_space:  global
        .offset:         32
        .size:           8
        .value_kind:     global_buffer
      - .actual_access:  read_only
        .address_space:  global
        .offset:         40
        .size:           8
        .value_kind:     global_buffer
      - .offset:         48
        .size:           4
        .value_kind:     by_value
      - .offset:         52
        .size:           4
        .value_kind:     by_value
      - .offset:         56
        .size:           4
        .value_kind:     by_value
      - .offset:         60
        .size:           4
        .value_kind:     by_value
      - .offset:         64
        .size:           4
        .value_kind:     by_value
      - .offset:         68
        .size:           4
        .value_kind:     by_value
      - .offset:         72
        .size:           4
        .value_kind:     by_value
      - .offset:         76
        .size:           4
        .value_kind:     by_value
      - .offset:         80
        .size:           4
        .value_kind:     by_value
    .group_segment_fixed_size: 16
    .kernarg_segment_align: 8
    .kernarg_segment_size: 84
    .language:       OpenCL C
    .language_version:
      - 2
      - 0
    .max_flat_workgroup_size: 1024
    .name:           _ZN5aiter23fused_qk_rmsnorm_kernelIDF16_Li128ELi8ELb1ELi1EEEvPT_S2_PKS1_S4_S4_S4_ffiiiiiii
    .private_segment_fixed_size: 0
    .sgpr_count:     30
    .sgpr_spill_count: 0
    .symbol:         _ZN5aiter23fused_qk_rmsnorm_kernelIDF16_Li128ELi8ELb1ELi1EEEvPT_S2_PKS1_S4_S4_S4_ffiiiiiii.kd
    .uniform_work_group_size: 1
    .uses_dynamic_stack: false
    .vgpr_count:     20
    .vgpr_spill_count: 0
    .wavefront_size: 32
    .workgroup_processor_mode: 1
  - .args:
      - .actual_access:  write_only
        .address_space:  global
        .offset:         0
        .size:           8
        .value_kind:     global_buffer
      - .actual_access:  write_only
        .address_space:  global
        .offset:         8
        .size:           8
        .value_kind:     global_buffer
      - .actual_access:  read_only
        .address_space:  global
        .offset:         16
        .size:           8
        .value_kind:     global_buffer
      - .actual_access:  read_only
        .address_space:  global
        .offset:         24
        .size:           8
        .value_kind:     global_buffer
      - .actual_access:  read_only
        .address_space:  global
        .offset:         32
        .size:           8
        .value_kind:     global_buffer
      - .actual_access:  read_only
        .address_space:  global
        .offset:         40
        .size:           8
        .value_kind:     global_buffer
      - .offset:         48
        .size:           4
        .value_kind:     by_value
      - .offset:         52
        .size:           4
        .value_kind:     by_value
      - .offset:         56
        .size:           4
        .value_kind:     by_value
      - .offset:         60
        .size:           4
        .value_kind:     by_value
      - .offset:         64
        .size:           4
        .value_kind:     by_value
      - .offset:         68
        .size:           4
        .value_kind:     by_value
      - .offset:         72
        .size:           4
        .value_kind:     by_value
      - .offset:         76
        .size:           4
        .value_kind:     by_value
      - .offset:         80
        .size:           4
        .value_kind:     by_value
    .group_segment_fixed_size: 16
    .kernarg_segment_align: 8
    .kernarg_segment_size: 84
    .language:       OpenCL C
    .language_version:
      - 2
      - 0
    .max_flat_workgroup_size: 1024
    .name:           _ZN5aiter23fused_qk_rmsnorm_kernelItLi128ELi8ELb1ELi1EEEvPT_S2_PKS1_S4_S4_S4_ffiiiiiii
    .private_segment_fixed_size: 0
    .sgpr_count:     30
    .sgpr_spill_count: 0
    .symbol:         _ZN5aiter23fused_qk_rmsnorm_kernelItLi128ELi8ELb1ELi1EEEvPT_S2_PKS1_S4_S4_S4_ffiiiiiii.kd
    .uniform_work_group_size: 1
    .uses_dynamic_stack: false
    .vgpr_count:     20
    .vgpr_spill_count: 0
    .wavefront_size: 32
    .workgroup_processor_mode: 1
  - .args:
      - .actual_access:  write_only
        .address_space:  global
        .offset:         0
        .size:           8
        .value_kind:     global_buffer
      - .actual_access:  write_only
        .address_space:  global
        .offset:         8
        .size:           8
        .value_kind:     global_buffer
      - .actual_access:  read_only
        .address_space:  global
        .offset:         16
        .size:           8
        .value_kind:     global_buffer
      - .actual_access:  read_only
        .address_space:  global
        .offset:         24
        .size:           8
        .value_kind:     global_buffer
      - .actual_access:  read_only
        .address_space:  global
        .offset:         32
        .size:           8
        .value_kind:     global_buffer
      - .actual_access:  read_only
        .address_space:  global
        .offset:         40
        .size:           8
        .value_kind:     global_buffer
      - .offset:         48
        .size:           4
        .value_kind:     by_value
      - .offset:         52
        .size:           4
        .value_kind:     by_value
      - .offset:         56
        .size:           4
        .value_kind:     by_value
      - .offset:         60
        .size:           4
        .value_kind:     by_value
      - .offset:         64
        .size:           4
        .value_kind:     by_value
      - .offset:         68
        .size:           4
        .value_kind:     by_value
      - .offset:         72
        .size:           4
        .value_kind:     by_value
      - .offset:         76
        .size:           4
        .value_kind:     by_value
      - .offset:         80
        .size:           4
        .value_kind:     by_value
    .group_segment_fixed_size: 32
    .kernarg_segment_align: 8
    .kernarg_segment_size: 84
    .language:       OpenCL C
    .language_version:
      - 2
      - 0
    .max_flat_workgroup_size: 1024
    .name:           _ZN5aiter23fused_qk_rmsnorm_kernelIDF16_Li256ELi8ELb1ELi4EEEvPT_S2_PKS1_S4_S4_S4_ffiiiiiii
    .private_segment_fixed_size: 0
    .sgpr_count:     34
    .sgpr_spill_count: 0
    .symbol:         _ZN5aiter23fused_qk_rmsnorm_kernelIDF16_Li256ELi8ELb1ELi4EEEvPT_S2_PKS1_S4_S4_S4_ffiiiiiii.kd
    .uniform_work_group_size: 1
    .uses_dynamic_stack: false
    .vgpr_count:     32
    .vgpr_spill_count: 0
    .wavefront_size: 32
    .workgroup_processor_mode: 1
  - .args:
      - .actual_access:  write_only
        .address_space:  global
        .offset:         0
        .size:           8
        .value_kind:     global_buffer
      - .actual_access:  write_only
        .address_space:  global
        .offset:         8
        .size:           8
        .value_kind:     global_buffer
      - .actual_access:  read_only
        .address_space:  global
        .offset:         16
        .size:           8
        .value_kind:     global_buffer
      - .actual_access:  read_only
        .address_space:  global
        .offset:         24
        .size:           8
        .value_kind:     global_buffer
      - .actual_access:  read_only
        .address_space:  global
        .offset:         32
        .size:           8
        .value_kind:     global_buffer
      - .actual_access:  read_only
        .address_space:  global
        .offset:         40
        .size:           8
        .value_kind:     global_buffer
      - .offset:         48
        .size:           4
        .value_kind:     by_value
      - .offset:         52
        .size:           4
        .value_kind:     by_value
      - .offset:         56
        .size:           4
        .value_kind:     by_value
      - .offset:         60
        .size:           4
        .value_kind:     by_value
      - .offset:         64
        .size:           4
        .value_kind:     by_value
      - .offset:         68
        .size:           4
        .value_kind:     by_value
      - .offset:         72
        .size:           4
        .value_kind:     by_value
      - .offset:         76
        .size:           4
        .value_kind:     by_value
      - .offset:         80
        .size:           4
        .value_kind:     by_value
    .group_segment_fixed_size: 32
    .kernarg_segment_align: 8
    .kernarg_segment_size: 84
    .language:       OpenCL C
    .language_version:
      - 2
      - 0
    .max_flat_workgroup_size: 1024
    .name:           _ZN5aiter23fused_qk_rmsnorm_kernelItLi256ELi8ELb1ELi4EEEvPT_S2_PKS1_S4_S4_S4_ffiiiiiii
    .private_segment_fixed_size: 0
    .sgpr_count:     34
    .sgpr_spill_count: 0
    .symbol:         _ZN5aiter23fused_qk_rmsnorm_kernelItLi256ELi8ELb1ELi4EEEvPT_S2_PKS1_S4_S4_S4_ffiiiiiii.kd
    .uniform_work_group_size: 1
    .uses_dynamic_stack: false
    .vgpr_count:     35
    .vgpr_spill_count: 0
    .wavefront_size: 32
    .workgroup_processor_mode: 1
  - .args:
      - .actual_access:  write_only
        .address_space:  global
        .offset:         0
        .size:           8
        .value_kind:     global_buffer
      - .actual_access:  write_only
        .address_space:  global
        .offset:         8
        .size:           8
        .value_kind:     global_buffer
      - .actual_access:  read_only
        .address_space:  global
        .offset:         16
        .size:           8
        .value_kind:     global_buffer
      - .actual_access:  read_only
        .address_space:  global
        .offset:         24
        .size:           8
        .value_kind:     global_buffer
      - .actual_access:  read_only
        .address_space:  global
        .offset:         32
        .size:           8
        .value_kind:     global_buffer
      - .actual_access:  read_only
        .address_space:  global
        .offset:         40
        .size:           8
        .value_kind:     global_buffer
      - .offset:         48
        .size:           4
        .value_kind:     by_value
      - .offset:         52
        .size:           4
        .value_kind:     by_value
      - .offset:         56
        .size:           4
        .value_kind:     by_value
      - .offset:         60
        .size:           4
        .value_kind:     by_value
      - .offset:         64
        .size:           4
        .value_kind:     by_value
      - .offset:         68
        .size:           4
        .value_kind:     by_value
      - .offset:         72
        .size:           4
        .value_kind:     by_value
      - .offset:         76
        .size:           4
        .value_kind:     by_value
      - .offset:         80
        .size:           4
        .value_kind:     by_value
    .group_segment_fixed_size: 32
    .kernarg_segment_align: 8
    .kernarg_segment_size: 84
    .language:       OpenCL C
    .language_version:
      - 2
      - 0
    .max_flat_workgroup_size: 1024
    .name:           _ZN5aiter23fused_qk_rmsnorm_kernelIDF16_Li256ELi8ELb1ELi1EEEvPT_S2_PKS1_S4_S4_S4_ffiiiiiii
    .private_segment_fixed_size: 0
    .sgpr_count:     30
    .sgpr_spill_count: 0
    .symbol:         _ZN5aiter23fused_qk_rmsnorm_kernelIDF16_Li256ELi8ELb1ELi1EEEvPT_S2_PKS1_S4_S4_S4_ffiiiiiii.kd
    .uniform_work_group_size: 1
    .uses_dynamic_stack: false
    .vgpr_count:     20
    .vgpr_spill_count: 0
    .wavefront_size: 32
    .workgroup_processor_mode: 1
  - .args:
      - .actual_access:  write_only
        .address_space:  global
        .offset:         0
        .size:           8
        .value_kind:     global_buffer
      - .actual_access:  write_only
        .address_space:  global
        .offset:         8
        .size:           8
        .value_kind:     global_buffer
      - .actual_access:  read_only
        .address_space:  global
        .offset:         16
        .size:           8
        .value_kind:     global_buffer
      - .actual_access:  read_only
        .address_space:  global
        .offset:         24
        .size:           8
        .value_kind:     global_buffer
      - .actual_access:  read_only
        .address_space:  global
        .offset:         32
        .size:           8
        .value_kind:     global_buffer
      - .actual_access:  read_only
        .address_space:  global
        .offset:         40
        .size:           8
        .value_kind:     global_buffer
      - .offset:         48
        .size:           4
        .value_kind:     by_value
      - .offset:         52
        .size:           4
        .value_kind:     by_value
      - .offset:         56
        .size:           4
        .value_kind:     by_value
      - .offset:         60
        .size:           4
        .value_kind:     by_value
      - .offset:         64
        .size:           4
        .value_kind:     by_value
      - .offset:         68
        .size:           4
        .value_kind:     by_value
      - .offset:         72
        .size:           4
        .value_kind:     by_value
      - .offset:         76
        .size:           4
        .value_kind:     by_value
      - .offset:         80
        .size:           4
        .value_kind:     by_value
    .group_segment_fixed_size: 32
    .kernarg_segment_align: 8
    .kernarg_segment_size: 84
    .language:       OpenCL C
    .language_version:
      - 2
      - 0
    .max_flat_workgroup_size: 1024
    .name:           _ZN5aiter23fused_qk_rmsnorm_kernelItLi256ELi8ELb1ELi1EEEvPT_S2_PKS1_S4_S4_S4_ffiiiiiii
    .private_segment_fixed_size: 0
    .sgpr_count:     30
    .sgpr_spill_count: 0
    .symbol:         _ZN5aiter23fused_qk_rmsnorm_kernelItLi256ELi8ELb1ELi1EEEvPT_S2_PKS1_S4_S4_S4_ffiiiiiii.kd
    .uniform_work_group_size: 1
    .uses_dynamic_stack: false
    .vgpr_count:     20
    .vgpr_spill_count: 0
    .wavefront_size: 32
    .workgroup_processor_mode: 1
  - .args:
      - .actual_access:  write_only
        .address_space:  global
        .offset:         0
        .size:           8
        .value_kind:     global_buffer
      - .actual_access:  write_only
        .address_space:  global
        .offset:         8
        .size:           8
        .value_kind:     global_buffer
      - .actual_access:  read_only
        .address_space:  global
        .offset:         16
        .size:           8
        .value_kind:     global_buffer
      - .actual_access:  read_only
        .address_space:  global
        .offset:         24
        .size:           8
        .value_kind:     global_buffer
      - .actual_access:  read_only
        .address_space:  global
        .offset:         32
        .size:           8
        .value_kind:     global_buffer
      - .actual_access:  read_only
        .address_space:  global
        .offset:         40
        .size:           8
        .value_kind:     global_buffer
      - .offset:         48
        .size:           4
        .value_kind:     by_value
      - .offset:         52
        .size:           4
        .value_kind:     by_value
      - .offset:         56
        .size:           4
        .value_kind:     by_value
      - .offset:         60
        .size:           4
        .value_kind:     by_value
      - .offset:         64
        .size:           4
        .value_kind:     by_value
      - .offset:         68
        .size:           4
        .value_kind:     by_value
      - .offset:         72
        .size:           4
        .value_kind:     by_value
      - .offset:         76
        .size:           4
        .value_kind:     by_value
      - .offset:         80
        .size:           4
        .value_kind:     by_value
    .group_segment_fixed_size: 32
    .kernarg_segment_align: 8
    .kernarg_segment_size: 84
    .language:       OpenCL C
    .language_version:
      - 2
      - 0
    .max_flat_workgroup_size: 1024
    .name:           _ZN5aiter23fused_qk_rmsnorm_kernelIDF16_Li256ELi16ELb1ELi2EEEvPT_S2_PKS1_S4_S4_S4_ffiiiiiii
    .private_segment_fixed_size: 0
    .sgpr_count:     33
    .sgpr_spill_count: 0
    .symbol:         _ZN5aiter23fused_qk_rmsnorm_kernelIDF16_Li256ELi16ELb1ELi2EEEvPT_S2_PKS1_S4_S4_S4_ffiiiiiii.kd
    .uniform_work_group_size: 1
    .uses_dynamic_stack: false
    .vgpr_count:     47
    .vgpr_spill_count: 0
    .wavefront_size: 32
    .workgroup_processor_mode: 1
  - .args:
      - .actual_access:  write_only
        .address_space:  global
        .offset:         0
        .size:           8
        .value_kind:     global_buffer
      - .actual_access:  write_only
        .address_space:  global
        .offset:         8
        .size:           8
        .value_kind:     global_buffer
      - .actual_access:  read_only
        .address_space:  global
        .offset:         16
        .size:           8
        .value_kind:     global_buffer
      - .actual_access:  read_only
        .address_space:  global
        .offset:         24
        .size:           8
        .value_kind:     global_buffer
      - .actual_access:  read_only
        .address_space:  global
        .offset:         32
        .size:           8
        .value_kind:     global_buffer
      - .actual_access:  read_only
        .address_space:  global
        .offset:         40
        .size:           8
        .value_kind:     global_buffer
      - .offset:         48
        .size:           4
        .value_kind:     by_value
      - .offset:         52
        .size:           4
        .value_kind:     by_value
      - .offset:         56
        .size:           4
        .value_kind:     by_value
      - .offset:         60
        .size:           4
        .value_kind:     by_value
      - .offset:         64
        .size:           4
        .value_kind:     by_value
      - .offset:         68
        .size:           4
        .value_kind:     by_value
      - .offset:         72
        .size:           4
        .value_kind:     by_value
      - .offset:         76
        .size:           4
        .value_kind:     by_value
      - .offset:         80
        .size:           4
        .value_kind:     by_value
    .group_segment_fixed_size: 32
    .kernarg_segment_align: 8
    .kernarg_segment_size: 84
    .language:       OpenCL C
    .language_version:
      - 2
      - 0
    .max_flat_workgroup_size: 1024
    .name:           _ZN5aiter23fused_qk_rmsnorm_kernelItLi256ELi16ELb1ELi2EEEvPT_S2_PKS1_S4_S4_S4_ffiiiiiii
    .private_segment_fixed_size: 0
    .sgpr_count:     33
    .sgpr_spill_count: 0
    .symbol:         _ZN5aiter23fused_qk_rmsnorm_kernelItLi256ELi16ELb1ELi2EEEvPT_S2_PKS1_S4_S4_S4_ffiiiiiii.kd
    .uniform_work_group_size: 1
    .uses_dynamic_stack: false
    .vgpr_count:     51
    .vgpr_spill_count: 0
    .wavefront_size: 32
    .workgroup_processor_mode: 1
  - .args:
      - .actual_access:  write_only
        .address_space:  global
        .offset:         0
        .size:           8
        .value_kind:     global_buffer
      - .actual_access:  write_only
        .address_space:  global
        .offset:         8
        .size:           8
        .value_kind:     global_buffer
      - .actual_access:  read_only
        .address_space:  global
        .offset:         16
        .size:           8
        .value_kind:     global_buffer
      - .actual_access:  read_only
        .address_space:  global
        .offset:         24
        .size:           8
        .value_kind:     global_buffer
      - .actual_access:  read_only
        .address_space:  global
        .offset:         32
        .size:           8
        .value_kind:     global_buffer
      - .actual_access:  read_only
        .address_space:  global
        .offset:         40
        .size:           8
        .value_kind:     global_buffer
      - .offset:         48
        .size:           4
        .value_kind:     by_value
      - .offset:         52
        .size:           4
        .value_kind:     by_value
      - .offset:         56
        .size:           4
        .value_kind:     by_value
      - .offset:         60
        .size:           4
        .value_kind:     by_value
      - .offset:         64
        .size:           4
        .value_kind:     by_value
      - .offset:         68
        .size:           4
        .value_kind:     by_value
      - .offset:         72
        .size:           4
        .value_kind:     by_value
      - .offset:         76
        .size:           4
        .value_kind:     by_value
      - .offset:         80
        .size:           4
        .value_kind:     by_value
    .group_segment_fixed_size: 32
    .kernarg_segment_align: 8
    .kernarg_segment_size: 84
    .language:       OpenCL C
    .language_version:
      - 2
      - 0
    .max_flat_workgroup_size: 1024
    .name:           _ZN5aiter23fused_qk_rmsnorm_kernelIDF16_Li256ELi16ELb1ELi1EEEvPT_S2_PKS1_S4_S4_S4_ffiiiiiii
    .private_segment_fixed_size: 0
    .sgpr_count:     30
    .sgpr_spill_count: 0
    .symbol:         _ZN5aiter23fused_qk_rmsnorm_kernelIDF16_Li256ELi16ELb1ELi1EEEvPT_S2_PKS1_S4_S4_S4_ffiiiiiii.kd
    .uniform_work_group_size: 1
    .uses_dynamic_stack: false
    .vgpr_count:     33
    .vgpr_spill_count: 0
    .wavefront_size: 32
    .workgroup_processor_mode: 1
  - .args:
      - .actual_access:  write_only
        .address_space:  global
        .offset:         0
        .size:           8
        .value_kind:     global_buffer
      - .actual_access:  write_only
        .address_space:  global
        .offset:         8
        .size:           8
        .value_kind:     global_buffer
      - .actual_access:  read_only
        .address_space:  global
        .offset:         16
        .size:           8
        .value_kind:     global_buffer
      - .actual_access:  read_only
        .address_space:  global
        .offset:         24
        .size:           8
        .value_kind:     global_buffer
      - .actual_access:  read_only
        .address_space:  global
        .offset:         32
        .size:           8
        .value_kind:     global_buffer
      - .actual_access:  read_only
        .address_space:  global
        .offset:         40
        .size:           8
        .value_kind:     global_buffer
      - .offset:         48
        .size:           4
        .value_kind:     by_value
      - .offset:         52
        .size:           4
        .value_kind:     by_value
      - .offset:         56
        .size:           4
        .value_kind:     by_value
      - .offset:         60
        .size:           4
        .value_kind:     by_value
      - .offset:         64
        .size:           4
        .value_kind:     by_value
      - .offset:         68
        .size:           4
        .value_kind:     by_value
      - .offset:         72
        .size:           4
        .value_kind:     by_value
      - .offset:         76
        .size:           4
        .value_kind:     by_value
      - .offset:         80
        .size:           4
        .value_kind:     by_value
    .group_segment_fixed_size: 32
    .kernarg_segment_align: 8
    .kernarg_segment_size: 84
    .language:       OpenCL C
    .language_version:
      - 2
      - 0
    .max_flat_workgroup_size: 1024
    .name:           _ZN5aiter23fused_qk_rmsnorm_kernelItLi256ELi16ELb1ELi1EEEvPT_S2_PKS1_S4_S4_S4_ffiiiiiii
    .private_segment_fixed_size: 0
    .sgpr_count:     30
    .sgpr_spill_count: 0
    .symbol:         _ZN5aiter23fused_qk_rmsnorm_kernelItLi256ELi16ELb1ELi1EEEvPT_S2_PKS1_S4_S4_S4_ffiiiiiii.kd
    .uniform_work_group_size: 1
    .uses_dynamic_stack: false
    .vgpr_count:     35
    .vgpr_spill_count: 0
    .wavefront_size: 32
    .workgroup_processor_mode: 1
  - .args:
      - .actual_access:  write_only
        .address_space:  global
        .offset:         0
        .size:           8
        .value_kind:     global_buffer
      - .actual_access:  write_only
        .address_space:  global
        .offset:         8
        .size:           8
        .value_kind:     global_buffer
      - .actual_access:  read_only
        .address_space:  global
        .offset:         16
        .size:           8
        .value_kind:     global_buffer
      - .actual_access:  read_only
        .address_space:  global
        .offset:         24
        .size:           8
        .value_kind:     global_buffer
      - .actual_access:  read_only
        .address_space:  global
        .offset:         32
        .size:           8
        .value_kind:     global_buffer
      - .actual_access:  read_only
        .address_space:  global
        .offset:         40
        .size:           8
        .value_kind:     global_buffer
      - .offset:         48
        .size:           4
        .value_kind:     by_value
      - .offset:         52
        .size:           4
        .value_kind:     by_value
      - .offset:         56
        .size:           4
        .value_kind:     by_value
      - .offset:         60
        .size:           4
        .value_kind:     by_value
      - .offset:         64
        .size:           4
        .value_kind:     by_value
      - .offset:         68
        .size:           4
        .value_kind:     by_value
      - .offset:         72
        .size:           4
        .value_kind:     by_value
      - .offset:         76
        .size:           4
        .value_kind:     by_value
      - .offset:         80
        .size:           4
        .value_kind:     by_value
    .group_segment_fixed_size: 32
    .kernarg_segment_align: 8
    .kernarg_segment_size: 84
    .language:       OpenCL C
    .language_version:
      - 2
      - 0
    .max_flat_workgroup_size: 1024
    .name:           _ZN5aiter23fused_qk_rmsnorm_kernelIDF16_Li256ELi24ELb1ELi2EEEvPT_S2_PKS1_S4_S4_S4_ffiiiiiii
    .private_segment_fixed_size: 0
    .sgpr_count:     33
    .sgpr_spill_count: 0
    .symbol:         _ZN5aiter23fused_qk_rmsnorm_kernelIDF16_Li256ELi24ELb1ELi2EEEvPT_S2_PKS1_S4_S4_S4_ffiiiiiii.kd
    .uniform_work_group_size: 1
    .uses_dynamic_stack: false
    .vgpr_count:     78
    .vgpr_spill_count: 0
    .wavefront_size: 32
    .workgroup_processor_mode: 1
  - .args:
      - .actual_access:  write_only
        .address_space:  global
        .offset:         0
        .size:           8
        .value_kind:     global_buffer
      - .actual_access:  write_only
        .address_space:  global
        .offset:         8
        .size:           8
        .value_kind:     global_buffer
      - .actual_access:  read_only
        .address_space:  global
        .offset:         16
        .size:           8
        .value_kind:     global_buffer
      - .actual_access:  read_only
        .address_space:  global
        .offset:         24
        .size:           8
        .value_kind:     global_buffer
      - .actual_access:  read_only
        .address_space:  global
        .offset:         32
        .size:           8
        .value_kind:     global_buffer
      - .actual_access:  read_only
        .address_space:  global
        .offset:         40
        .size:           8
        .value_kind:     global_buffer
      - .offset:         48
        .size:           4
        .value_kind:     by_value
      - .offset:         52
        .size:           4
        .value_kind:     by_value
      - .offset:         56
        .size:           4
        .value_kind:     by_value
      - .offset:         60
        .size:           4
        .value_kind:     by_value
      - .offset:         64
        .size:           4
        .value_kind:     by_value
      - .offset:         68
        .size:           4
        .value_kind:     by_value
      - .offset:         72
        .size:           4
        .value_kind:     by_value
      - .offset:         76
        .size:           4
        .value_kind:     by_value
      - .offset:         80
        .size:           4
        .value_kind:     by_value
    .group_segment_fixed_size: 32
    .kernarg_segment_align: 8
    .kernarg_segment_size: 84
    .language:       OpenCL C
    .language_version:
      - 2
      - 0
    .max_flat_workgroup_size: 1024
    .name:           _ZN5aiter23fused_qk_rmsnorm_kernelItLi256ELi24ELb1ELi2EEEvPT_S2_PKS1_S4_S4_S4_ffiiiiiii
    .private_segment_fixed_size: 0
    .sgpr_count:     33
    .sgpr_spill_count: 0
    .symbol:         _ZN5aiter23fused_qk_rmsnorm_kernelItLi256ELi24ELb1ELi2EEEvPT_S2_PKS1_S4_S4_S4_ffiiiiiii.kd
    .uniform_work_group_size: 1
    .uses_dynamic_stack: false
    .vgpr_count:     77
    .vgpr_spill_count: 0
    .wavefront_size: 32
    .workgroup_processor_mode: 1
  - .args:
      - .actual_access:  write_only
        .address_space:  global
        .offset:         0
        .size:           8
        .value_kind:     global_buffer
      - .actual_access:  write_only
        .address_space:  global
        .offset:         8
        .size:           8
        .value_kind:     global_buffer
      - .actual_access:  read_only
        .address_space:  global
        .offset:         16
        .size:           8
        .value_kind:     global_buffer
      - .actual_access:  read_only
        .address_space:  global
        .offset:         24
        .size:           8
        .value_kind:     global_buffer
      - .actual_access:  read_only
        .address_space:  global
        .offset:         32
        .size:           8
        .value_kind:     global_buffer
      - .actual_access:  read_only
        .address_space:  global
        .offset:         40
        .size:           8
        .value_kind:     global_buffer
      - .offset:         48
        .size:           4
        .value_kind:     by_value
      - .offset:         52
        .size:           4
        .value_kind:     by_value
      - .offset:         56
        .size:           4
        .value_kind:     by_value
      - .offset:         60
        .size:           4
        .value_kind:     by_value
      - .offset:         64
        .size:           4
        .value_kind:     by_value
      - .offset:         68
        .size:           4
        .value_kind:     by_value
      - .offset:         72
        .size:           4
        .value_kind:     by_value
      - .offset:         76
        .size:           4
        .value_kind:     by_value
      - .offset:         80
        .size:           4
        .value_kind:     by_value
    .group_segment_fixed_size: 32
    .kernarg_segment_align: 8
    .kernarg_segment_size: 84
    .language:       OpenCL C
    .language_version:
      - 2
      - 0
    .max_flat_workgroup_size: 1024
    .name:           _ZN5aiter23fused_qk_rmsnorm_kernelIDF16_Li256ELi24ELb1ELi1EEEvPT_S2_PKS1_S4_S4_S4_ffiiiiiii
    .private_segment_fixed_size: 0
    .sgpr_count:     30
    .sgpr_spill_count: 0
    .symbol:         _ZN5aiter23fused_qk_rmsnorm_kernelIDF16_Li256ELi24ELb1ELi1EEEvPT_S2_PKS1_S4_S4_S4_ffiiiiiii.kd
    .uniform_work_group_size: 1
    .uses_dynamic_stack: false
    .vgpr_count:     46
    .vgpr_spill_count: 0
    .wavefront_size: 32
    .workgroup_processor_mode: 1
  - .args:
      - .actual_access:  write_only
        .address_space:  global
        .offset:         0
        .size:           8
        .value_kind:     global_buffer
      - .actual_access:  write_only
        .address_space:  global
        .offset:         8
        .size:           8
        .value_kind:     global_buffer
      - .actual_access:  read_only
        .address_space:  global
        .offset:         16
        .size:           8
        .value_kind:     global_buffer
      - .actual_access:  read_only
        .address_space:  global
        .offset:         24
        .size:           8
        .value_kind:     global_buffer
      - .actual_access:  read_only
        .address_space:  global
        .offset:         32
        .size:           8
        .value_kind:     global_buffer
      - .actual_access:  read_only
        .address_space:  global
        .offset:         40
        .size:           8
        .value_kind:     global_buffer
      - .offset:         48
        .size:           4
        .value_kind:     by_value
      - .offset:         52
        .size:           4
        .value_kind:     by_value
      - .offset:         56
        .size:           4
        .value_kind:     by_value
      - .offset:         60
        .size:           4
        .value_kind:     by_value
      - .offset:         64
        .size:           4
        .value_kind:     by_value
      - .offset:         68
        .size:           4
        .value_kind:     by_value
      - .offset:         72
        .size:           4
        .value_kind:     by_value
      - .offset:         76
        .size:           4
        .value_kind:     by_value
      - .offset:         80
        .size:           4
        .value_kind:     by_value
    .group_segment_fixed_size: 32
    .kernarg_segment_align: 8
    .kernarg_segment_size: 84
    .language:       OpenCL C
    .language_version:
      - 2
      - 0
    .max_flat_workgroup_size: 1024
    .name:           _ZN5aiter23fused_qk_rmsnorm_kernelItLi256ELi24ELb1ELi1EEEvPT_S2_PKS1_S4_S4_S4_ffiiiiiii
    .private_segment_fixed_size: 0
    .sgpr_count:     30
    .sgpr_spill_count: 0
    .symbol:         _ZN5aiter23fused_qk_rmsnorm_kernelItLi256ELi24ELb1ELi1EEEvPT_S2_PKS1_S4_S4_S4_ffiiiiiii.kd
    .uniform_work_group_size: 1
    .uses_dynamic_stack: false
    .vgpr_count:     56
    .vgpr_spill_count: 0
    .wavefront_size: 32
    .workgroup_processor_mode: 1
  - .args:
      - .actual_access:  write_only
        .address_space:  global
        .offset:         0
        .size:           8
        .value_kind:     global_buffer
      - .actual_access:  write_only
        .address_space:  global
        .offset:         8
        .size:           8
        .value_kind:     global_buffer
      - .actual_access:  read_only
        .address_space:  global
        .offset:         16
        .size:           8
        .value_kind:     global_buffer
      - .actual_access:  read_only
        .address_space:  global
        .offset:         24
        .size:           8
        .value_kind:     global_buffer
      - .actual_access:  read_only
        .address_space:  global
        .offset:         32
        .size:           8
        .value_kind:     global_buffer
      - .actual_access:  read_only
        .address_space:  global
        .offset:         40
        .size:           8
        .value_kind:     global_buffer
      - .offset:         48
        .size:           4
        .value_kind:     by_value
      - .offset:         52
        .size:           4
        .value_kind:     by_value
      - .offset:         56
        .size:           4
        .value_kind:     by_value
      - .offset:         60
        .size:           4
        .value_kind:     by_value
      - .offset:         64
        .size:           4
        .value_kind:     by_value
      - .offset:         68
        .size:           4
        .value_kind:     by_value
      - .offset:         72
        .size:           4
        .value_kind:     by_value
      - .offset:         76
        .size:           4
        .value_kind:     by_value
      - .offset:         80
        .size:           4
        .value_kind:     by_value
    .group_segment_fixed_size: 32
    .kernarg_segment_align: 8
    .kernarg_segment_size: 84
    .language:       OpenCL C
    .language_version:
      - 2
      - 0
    .max_flat_workgroup_size: 1024
    .name:           _ZN5aiter23fused_qk_rmsnorm_kernelIDF16_Li256ELi32ELb1ELi2EEEvPT_S2_PKS1_S4_S4_S4_ffiiiiiii
    .private_segment_fixed_size: 0
    .sgpr_count:     33
    .sgpr_spill_count: 0
    .symbol:         _ZN5aiter23fused_qk_rmsnorm_kernelIDF16_Li256ELi32ELb1ELi2EEEvPT_S2_PKS1_S4_S4_S4_ffiiiiiii.kd
    .uniform_work_group_size: 1
    .uses_dynamic_stack: false
    .vgpr_count:     93
    .vgpr_spill_count: 0
    .wavefront_size: 32
    .workgroup_processor_mode: 1
  - .args:
      - .actual_access:  write_only
        .address_space:  global
        .offset:         0
        .size:           8
        .value_kind:     global_buffer
      - .actual_access:  write_only
        .address_space:  global
        .offset:         8
        .size:           8
        .value_kind:     global_buffer
      - .actual_access:  read_only
        .address_space:  global
        .offset:         16
        .size:           8
        .value_kind:     global_buffer
      - .actual_access:  read_only
        .address_space:  global
        .offset:         24
        .size:           8
        .value_kind:     global_buffer
      - .actual_access:  read_only
        .address_space:  global
        .offset:         32
        .size:           8
        .value_kind:     global_buffer
      - .actual_access:  read_only
        .address_space:  global
        .offset:         40
        .size:           8
        .value_kind:     global_buffer
      - .offset:         48
        .size:           4
        .value_kind:     by_value
      - .offset:         52
        .size:           4
        .value_kind:     by_value
      - .offset:         56
        .size:           4
        .value_kind:     by_value
      - .offset:         60
        .size:           4
        .value_kind:     by_value
      - .offset:         64
        .size:           4
        .value_kind:     by_value
      - .offset:         68
        .size:           4
        .value_kind:     by_value
      - .offset:         72
        .size:           4
        .value_kind:     by_value
      - .offset:         76
        .size:           4
        .value_kind:     by_value
      - .offset:         80
        .size:           4
        .value_kind:     by_value
    .group_segment_fixed_size: 32
    .kernarg_segment_align: 8
    .kernarg_segment_size: 84
    .language:       OpenCL C
    .language_version:
      - 2
      - 0
    .max_flat_workgroup_size: 1024
    .name:           _ZN5aiter23fused_qk_rmsnorm_kernelItLi256ELi32ELb1ELi2EEEvPT_S2_PKS1_S4_S4_S4_ffiiiiiii
    .private_segment_fixed_size: 0
    .sgpr_count:     33
    .sgpr_spill_count: 0
    .symbol:         _ZN5aiter23fused_qk_rmsnorm_kernelItLi256ELi32ELb1ELi2EEEvPT_S2_PKS1_S4_S4_S4_ffiiiiiii.kd
    .uniform_work_group_size: 1
    .uses_dynamic_stack: false
    .vgpr_count:     101
    .vgpr_spill_count: 0
    .wavefront_size: 32
    .workgroup_processor_mode: 1
  - .args:
      - .actual_access:  write_only
        .address_space:  global
        .offset:         0
        .size:           8
        .value_kind:     global_buffer
      - .actual_access:  write_only
        .address_space:  global
        .offset:         8
        .size:           8
        .value_kind:     global_buffer
      - .actual_access:  read_only
        .address_space:  global
        .offset:         16
        .size:           8
        .value_kind:     global_buffer
      - .actual_access:  read_only
        .address_space:  global
        .offset:         24
        .size:           8
        .value_kind:     global_buffer
      - .actual_access:  read_only
        .address_space:  global
        .offset:         32
        .size:           8
        .value_kind:     global_buffer
      - .actual_access:  read_only
        .address_space:  global
        .offset:         40
        .size:           8
        .value_kind:     global_buffer
      - .offset:         48
        .size:           4
        .value_kind:     by_value
      - .offset:         52
        .size:           4
        .value_kind:     by_value
      - .offset:         56
        .size:           4
        .value_kind:     by_value
      - .offset:         60
        .size:           4
        .value_kind:     by_value
      - .offset:         64
        .size:           4
        .value_kind:     by_value
      - .offset:         68
        .size:           4
        .value_kind:     by_value
      - .offset:         72
        .size:           4
        .value_kind:     by_value
      - .offset:         76
        .size:           4
        .value_kind:     by_value
      - .offset:         80
        .size:           4
        .value_kind:     by_value
    .group_segment_fixed_size: 32
    .kernarg_segment_align: 8
    .kernarg_segment_size: 84
    .language:       OpenCL C
    .language_version:
      - 2
      - 0
    .max_flat_workgroup_size: 1024
    .name:           _ZN5aiter23fused_qk_rmsnorm_kernelIDF16_Li256ELi32ELb1ELi1EEEvPT_S2_PKS1_S4_S4_S4_ffiiiiiii
    .private_segment_fixed_size: 0
    .sgpr_count:     30
    .sgpr_spill_count: 0
    .symbol:         _ZN5aiter23fused_qk_rmsnorm_kernelIDF16_Li256ELi32ELb1ELi1EEEvPT_S2_PKS1_S4_S4_S4_ffiiiiiii.kd
    .uniform_work_group_size: 1
    .uses_dynamic_stack: false
    .vgpr_count:     59
    .vgpr_spill_count: 0
    .wavefront_size: 32
    .workgroup_processor_mode: 1
  - .args:
      - .actual_access:  write_only
        .address_space:  global
        .offset:         0
        .size:           8
        .value_kind:     global_buffer
      - .actual_access:  write_only
        .address_space:  global
        .offset:         8
        .size:           8
        .value_kind:     global_buffer
      - .actual_access:  read_only
        .address_space:  global
        .offset:         16
        .size:           8
        .value_kind:     global_buffer
      - .actual_access:  read_only
        .address_space:  global
        .offset:         24
        .size:           8
        .value_kind:     global_buffer
      - .actual_access:  read_only
        .address_space:  global
        .offset:         32
        .size:           8
        .value_kind:     global_buffer
      - .actual_access:  read_only
        .address_space:  global
        .offset:         40
        .size:           8
        .value_kind:     global_buffer
      - .offset:         48
        .size:           4
        .value_kind:     by_value
      - .offset:         52
        .size:           4
        .value_kind:     by_value
      - .offset:         56
        .size:           4
        .value_kind:     by_value
      - .offset:         60
        .size:           4
        .value_kind:     by_value
      - .offset:         64
        .size:           4
        .value_kind:     by_value
      - .offset:         68
        .size:           4
        .value_kind:     by_value
      - .offset:         72
        .size:           4
        .value_kind:     by_value
      - .offset:         76
        .size:           4
        .value_kind:     by_value
      - .offset:         80
        .size:           4
        .value_kind:     by_value
    .group_segment_fixed_size: 32
    .kernarg_segment_align: 8
    .kernarg_segment_size: 84
    .language:       OpenCL C
    .language_version:
      - 2
      - 0
    .max_flat_workgroup_size: 1024
    .name:           _ZN5aiter23fused_qk_rmsnorm_kernelItLi256ELi32ELb1ELi1EEEvPT_S2_PKS1_S4_S4_S4_ffiiiiiii
    .private_segment_fixed_size: 0
    .sgpr_count:     30
    .sgpr_spill_count: 0
    .symbol:         _ZN5aiter23fused_qk_rmsnorm_kernelItLi256ELi32ELb1ELi1EEEvPT_S2_PKS1_S4_S4_S4_ffiiiiiii.kd
    .uniform_work_group_size: 1
    .uses_dynamic_stack: false
    .vgpr_count:     71
    .vgpr_spill_count: 0
    .wavefront_size: 32
    .workgroup_processor_mode: 1
amdhsa.target:   amdgcn-amd-amdhsa--gfx1100
amdhsa.version:
  - 1
  - 2
...

	.end_amdgpu_metadata
